;; amdgpu-corpus repo=LLNL/RAJAPerf kind=compiled arch=gfx90a opt=O3
	.text
	.amdgcn_target "amdgcn-amd-amdhsa--gfx90a"
	.amdhsa_code_object_version 6
	.section	.text._ZN7rocprim6detail19block_reduce_kernelILb0ELb1ELj1ENS0_21wrapped_reduce_configINS_14default_configEdEEdPdS5_dNS_4plusIdEEEEvT4_mT5_T6_T7_,"axG",@progbits,_ZN7rocprim6detail19block_reduce_kernelILb0ELb1ELj1ENS0_21wrapped_reduce_configINS_14default_configEdEEdPdS5_dNS_4plusIdEEEEvT4_mT5_T6_T7_,comdat
	.protected	_ZN7rocprim6detail19block_reduce_kernelILb0ELb1ELj1ENS0_21wrapped_reduce_configINS_14default_configEdEEdPdS5_dNS_4plusIdEEEEvT4_mT5_T6_T7_ ; -- Begin function _ZN7rocprim6detail19block_reduce_kernelILb0ELb1ELj1ENS0_21wrapped_reduce_configINS_14default_configEdEEdPdS5_dNS_4plusIdEEEEvT4_mT5_T6_T7_
	.globl	_ZN7rocprim6detail19block_reduce_kernelILb0ELb1ELj1ENS0_21wrapped_reduce_configINS_14default_configEdEEdPdS5_dNS_4plusIdEEEEvT4_mT5_T6_T7_
	.p2align	8
	.type	_ZN7rocprim6detail19block_reduce_kernelILb0ELb1ELj1ENS0_21wrapped_reduce_configINS_14default_configEdEEdPdS5_dNS_4plusIdEEEEvT4_mT5_T6_T7_,@function
_ZN7rocprim6detail19block_reduce_kernelILb0ELb1ELj1ENS0_21wrapped_reduce_configINS_14default_configEdEEdPdS5_dNS_4plusIdEEEEvT4_mT5_T6_T7_: ; @_ZN7rocprim6detail19block_reduce_kernelILb0ELb1ELj1ENS0_21wrapped_reduce_configINS_14default_configEdEEdPdS5_dNS_4plusIdEEEEvT4_mT5_T6_T7_
; %bb.0:
	s_load_dwordx8 s[36:43], s[4:5], 0x0
	s_lshl_b32 s0, s6, 12
	s_mov_b32 s1, 0
	s_lshl_b64 s[4:5], s[0:1], 3
	s_mov_b32 s7, s1
	s_waitcnt lgkmcnt(0)
	s_lshr_b64 s[2:3], s[38:39], 12
	s_add_u32 s1, s36, s4
	s_addc_u32 s4, s37, s5
	v_lshlrev_b32_e32 v1, 3, v0
	v_mov_b32_e32 v2, s4
	v_add_co_u32_e32 v34, vcc, s1, v1
	s_cmp_lg_u64 s[2:3], s[6:7]
	v_addc_co_u32_e32 v35, vcc, 0, v2, vcc
	v_mbcnt_lo_u32_b32 v1, -1, 0
	s_cbranch_scc0 .LBB0_6
; %bb.1:
	v_add_co_u32_e32 v2, vcc, 0x1000, v34
	v_addc_co_u32_e32 v3, vcc, 0, v35, vcc
	global_load_dwordx2 v[6:7], v[34:35], off
	global_load_dwordx2 v[8:9], v[34:35], off offset:2048
	global_load_dwordx2 v[10:11], v[2:3], off
	global_load_dwordx2 v[12:13], v[2:3], off offset:2048
	v_add_co_u32_e32 v2, vcc, 0x2000, v34
	v_addc_co_u32_e32 v3, vcc, 0, v35, vcc
	v_add_co_u32_e32 v4, vcc, 0x3000, v34
	v_addc_co_u32_e32 v5, vcc, 0, v35, vcc
	global_load_dwordx2 v[14:15], v[2:3], off
	global_load_dwordx2 v[16:17], v[2:3], off offset:2048
	global_load_dwordx2 v[18:19], v[4:5], off
	global_load_dwordx2 v[20:21], v[4:5], off offset:2048
	v_add_co_u32_e32 v2, vcc, 0x4000, v34
	v_addc_co_u32_e32 v3, vcc, 0, v35, vcc
	;; [unrolled: 8-line block ×3, first 2 shown]
	v_add_co_u32_e32 v4, vcc, 0x7000, v34
	v_addc_co_u32_e32 v5, vcc, 0, v35, vcc
	global_load_dwordx2 v[30:31], v[2:3], off
	global_load_dwordx2 v[32:33], v[2:3], off offset:2048
	global_load_dwordx2 v[36:37], v[4:5], off
	global_load_dwordx2 v[38:39], v[4:5], off offset:2048
	v_mbcnt_hi_u32_b32 v4, -1, v1
	v_bfrev_b32_e32 v2, 0.5
	v_lshl_or_b32 v5, v4, 2, v2
	v_cmp_eq_u32_e32 vcc, 0, v4
	s_waitcnt vmcnt(14)
	v_add_f64 v[2:3], v[6:7], v[8:9]
	s_waitcnt vmcnt(13)
	v_add_f64 v[2:3], v[2:3], v[10:11]
	;; [unrolled: 2-line block ×15, first 2 shown]
	s_nop 1
	v_mov_b32_dpp v6, v2 quad_perm:[1,0,3,2] row_mask:0xf bank_mask:0xf
	v_mov_b32_dpp v7, v3 quad_perm:[1,0,3,2] row_mask:0xf bank_mask:0xf
	v_add_f64 v[2:3], v[2:3], v[6:7]
	s_nop 1
	v_mov_b32_dpp v6, v2 quad_perm:[2,3,0,1] row_mask:0xf bank_mask:0xf
	v_mov_b32_dpp v7, v3 quad_perm:[2,3,0,1] row_mask:0xf bank_mask:0xf
	v_add_f64 v[2:3], v[2:3], v[6:7]
	s_nop 1
	v_mov_b32_dpp v6, v2 row_ror:4 row_mask:0xf bank_mask:0xf
	v_mov_b32_dpp v7, v3 row_ror:4 row_mask:0xf bank_mask:0xf
	v_add_f64 v[2:3], v[2:3], v[6:7]
	s_nop 1
	v_mov_b32_dpp v6, v2 row_ror:8 row_mask:0xf bank_mask:0xf
	v_mov_b32_dpp v7, v3 row_ror:8 row_mask:0xf bank_mask:0xf
	v_add_f64 v[2:3], v[2:3], v[6:7]
	s_nop 1
	v_mov_b32_dpp v6, v2 row_bcast:15 row_mask:0xf bank_mask:0xf
	v_mov_b32_dpp v7, v3 row_bcast:15 row_mask:0xf bank_mask:0xf
	v_add_f64 v[2:3], v[2:3], v[6:7]
	s_nop 1
	v_mov_b32_dpp v6, v2 row_bcast:31 row_mask:0xf bank_mask:0xf
	v_mov_b32_dpp v7, v3 row_bcast:31 row_mask:0xf bank_mask:0xf
	v_add_f64 v[2:3], v[2:3], v[6:7]
	ds_bpermute_b32 v2, v5, v2
	ds_bpermute_b32 v3, v5, v3
	s_and_saveexec_b64 s[2:3], vcc
	s_cbranch_execz .LBB0_3
; %bb.2:
	v_lshrrev_b32_e32 v5, 3, v0
	v_and_b32_e32 v5, 24, v5
	s_waitcnt lgkmcnt(0)
	ds_write_b64 v5, v[2:3]
.LBB0_3:
	s_or_b64 exec, exec, s[2:3]
	v_cmp_gt_u32_e32 vcc, 64, v0
	s_waitcnt lgkmcnt(0)
	s_barrier
	s_and_saveexec_b64 s[2:3], vcc
	s_cbranch_execz .LBB0_5
; %bb.4:
	v_and_b32_e32 v5, 3, v4
	v_lshlrev_b32_e32 v2, 3, v5
	ds_read_b64 v[2:3], v2
	v_cmp_ne_u32_e32 vcc, 3, v5
	v_addc_co_u32_e32 v6, vcc, 0, v4, vcc
	v_lshlrev_b32_e32 v7, 2, v6
	s_waitcnt lgkmcnt(0)
	ds_bpermute_b32 v6, v7, v2
	ds_bpermute_b32 v7, v7, v3
	v_cmp_gt_u32_e32 vcc, 2, v5
	v_cndmask_b32_e64 v5, 0, 1, vcc
	v_lshlrev_b32_e32 v5, 1, v5
	v_add_lshl_u32 v5, v5, v4, 2
	s_waitcnt lgkmcnt(0)
	v_add_f64 v[2:3], v[2:3], v[6:7]
	ds_bpermute_b32 v4, v5, v2
	ds_bpermute_b32 v5, v5, v3
	s_waitcnt lgkmcnt(0)
	v_add_f64 v[2:3], v[2:3], v[4:5]
.LBB0_5:
	s_or_b64 exec, exec, s[2:3]
	s_branch .LBB0_46
.LBB0_6:
                                        ; implicit-def: $vgpr2_vgpr3
	s_cbranch_execz .LBB0_46
; %bb.7:
	s_sub_i32 s33, s38, s0
	v_cmp_gt_u32_e32 vcc, s33, v0
                                        ; implicit-def: $vgpr2_vgpr3_vgpr4_vgpr5_vgpr6_vgpr7_vgpr8_vgpr9_vgpr10_vgpr11_vgpr12_vgpr13_vgpr14_vgpr15_vgpr16_vgpr17_vgpr18_vgpr19_vgpr20_vgpr21_vgpr22_vgpr23_vgpr24_vgpr25_vgpr26_vgpr27_vgpr28_vgpr29_vgpr30_vgpr31_vgpr32_vgpr33
	s_and_saveexec_b64 s[0:1], vcc
	s_cbranch_execz .LBB0_9
; %bb.8:
	global_load_dwordx2 v[2:3], v[34:35], off
.LBB0_9:
	s_or_b64 exec, exec, s[0:1]
	v_or_b32_e32 v36, 0x100, v0
	v_cmp_gt_u32_e64 s[0:1], s33, v36
	s_and_saveexec_b64 s[2:3], s[0:1]
	s_cbranch_execz .LBB0_11
; %bb.10:
	global_load_dwordx2 v[4:5], v[34:35], off offset:2048
.LBB0_11:
	s_or_b64 exec, exec, s[2:3]
	v_or_b32_e32 v36, 0x200, v0
	v_cmp_gt_u32_e64 s[2:3], s33, v36
	s_and_saveexec_b64 s[4:5], s[2:3]
	s_cbranch_execz .LBB0_13
; %bb.12:
	v_add_co_u32_e32 v6, vcc, 0x1000, v34
	v_addc_co_u32_e32 v7, vcc, 0, v35, vcc
	global_load_dwordx2 v[6:7], v[6:7], off
.LBB0_13:
	s_or_b64 exec, exec, s[4:5]
	v_or_b32_e32 v36, 0x300, v0
	v_cmp_gt_u32_e64 s[4:5], s33, v36
	s_and_saveexec_b64 s[8:9], s[4:5]
	s_cbranch_execz .LBB0_15
; %bb.14:
	v_add_co_u32_e32 v8, vcc, 0x1000, v34
	v_addc_co_u32_e32 v9, vcc, 0, v35, vcc
	global_load_dwordx2 v[8:9], v[8:9], off offset:2048
.LBB0_15:
	s_or_b64 exec, exec, s[8:9]
	v_or_b32_e32 v36, 0x400, v0
	v_cmp_gt_u32_e64 s[8:9], s33, v36
	s_and_saveexec_b64 s[10:11], s[8:9]
	s_cbranch_execz .LBB0_17
; %bb.16:
	v_add_co_u32_e32 v10, vcc, 0x2000, v34
	v_addc_co_u32_e32 v11, vcc, 0, v35, vcc
	global_load_dwordx2 v[10:11], v[10:11], off
.LBB0_17:
	s_or_b64 exec, exec, s[10:11]
	v_or_b32_e32 v36, 0x500, v0
	v_cmp_gt_u32_e64 s[10:11], s33, v36
	s_and_saveexec_b64 s[12:13], s[10:11]
	s_cbranch_execz .LBB0_19
; %bb.18:
	v_add_co_u32_e32 v12, vcc, 0x2000, v34
	v_addc_co_u32_e32 v13, vcc, 0, v35, vcc
	global_load_dwordx2 v[12:13], v[12:13], off offset:2048
.LBB0_19:
	;; [unrolled: 20-line block ×7, first 2 shown]
	s_or_b64 exec, exec, s[34:35]
	s_waitcnt vmcnt(0)
	v_add_f64 v[4:5], v[2:3], v[4:5]
	v_cndmask_b32_e64 v3, v3, v5, s[0:1]
	v_cndmask_b32_e64 v2, v2, v4, s[0:1]
	v_add_f64 v[4:5], v[6:7], v[2:3]
	v_cndmask_b32_e64 v3, v3, v5, s[2:3]
	v_cndmask_b32_e64 v2, v2, v4, s[2:3]
	;; [unrolled: 3-line block ×13, first 2 shown]
	v_add_f64 v[4:5], v[30:31], v[2:3]
	v_mbcnt_hi_u32_b32 v1, -1, v1
	v_cndmask_b32_e64 v3, v3, v5, s[28:29]
	v_cndmask_b32_e64 v2, v2, v4, s[28:29]
	v_and_b32_e32 v6, 63, v1
	v_add_f64 v[4:5], v[32:33], v[2:3]
	v_cmp_ne_u32_e32 vcc, 63, v6
	v_cndmask_b32_e64 v2, v2, v4, s[30:31]
	v_addc_co_u32_e32 v4, vcc, 0, v1, vcc
	v_cndmask_b32_e64 v3, v3, v5, s[30:31]
	v_lshlrev_b32_e32 v5, 2, v4
	ds_bpermute_b32 v4, v5, v2
	ds_bpermute_b32 v5, v5, v3
	s_min_u32 s4, s33, 0x100
	v_and_b32_e32 v7, 0xc0, v0
	v_sub_u32_e64 v7, s4, v7 clamp
	v_add_u32_e32 v8, 1, v1
	s_waitcnt lgkmcnt(0)
	v_add_f64 v[4:5], v[2:3], v[4:5]
	v_cmp_lt_u32_e32 vcc, v8, v7
	v_cndmask_b32_e32 v2, v2, v4, vcc
	v_cndmask_b32_e32 v3, v3, v5, vcc
	v_cmp_gt_u32_e32 vcc, 62, v6
	v_cndmask_b32_e64 v4, 0, 1, vcc
	v_lshlrev_b32_e32 v4, 1, v4
	v_add_lshl_u32 v5, v4, v1, 2
	ds_bpermute_b32 v4, v5, v2
	ds_bpermute_b32 v5, v5, v3
	v_add_u32_e32 v8, 2, v1
	v_cmp_lt_u32_e32 vcc, v8, v7
	v_add_u32_e32 v8, 4, v1
	v_cmp_gt_u32_e64 s[0:1], 32, v6
	s_waitcnt lgkmcnt(0)
	v_add_f64 v[4:5], v[2:3], v[4:5]
	v_cndmask_b32_e32 v2, v2, v4, vcc
	v_cndmask_b32_e32 v3, v3, v5, vcc
	v_cmp_gt_u32_e32 vcc, 60, v6
	v_cndmask_b32_e64 v4, 0, 1, vcc
	v_lshlrev_b32_e32 v4, 2, v4
	v_add_lshl_u32 v5, v4, v1, 2
	ds_bpermute_b32 v4, v5, v2
	ds_bpermute_b32 v5, v5, v3
	v_cmp_lt_u32_e32 vcc, v8, v7
	v_add_u32_e32 v8, 8, v1
	s_waitcnt lgkmcnt(0)
	v_add_f64 v[4:5], v[2:3], v[4:5]
	v_cndmask_b32_e32 v2, v2, v4, vcc
	v_cndmask_b32_e32 v3, v3, v5, vcc
	v_cmp_gt_u32_e32 vcc, 56, v6
	v_cndmask_b32_e64 v4, 0, 1, vcc
	v_lshlrev_b32_e32 v4, 3, v4
	v_add_lshl_u32 v5, v4, v1, 2
	ds_bpermute_b32 v4, v5, v2
	ds_bpermute_b32 v5, v5, v3
	v_cmp_lt_u32_e32 vcc, v8, v7
	v_add_u32_e32 v8, 16, v1
	s_waitcnt lgkmcnt(0)
	v_add_f64 v[4:5], v[2:3], v[4:5]
	v_cndmask_b32_e32 v2, v2, v4, vcc
	v_cndmask_b32_e32 v3, v3, v5, vcc
	v_cmp_gt_u32_e32 vcc, 48, v6
	v_cndmask_b32_e64 v4, 0, 1, vcc
	v_lshlrev_b32_e32 v4, 4, v4
	v_add_lshl_u32 v5, v4, v1, 2
	ds_bpermute_b32 v4, v5, v2
	ds_bpermute_b32 v5, v5, v3
	v_cmp_lt_u32_e32 vcc, v8, v7
	s_waitcnt lgkmcnt(0)
	v_add_f64 v[4:5], v[2:3], v[4:5]
	v_cndmask_b32_e32 v2, v2, v4, vcc
	v_cndmask_b32_e64 v4, 0, 1, s[0:1]
	v_lshlrev_b32_e32 v4, 5, v4
	v_add_lshl_u32 v6, v4, v1, 2
	v_cndmask_b32_e32 v3, v3, v5, vcc
	ds_bpermute_b32 v4, v6, v2
	ds_bpermute_b32 v5, v6, v3
	v_add_u32_e32 v6, 32, v1
	v_cmp_lt_u32_e32 vcc, v6, v7
	s_waitcnt lgkmcnt(0)
	v_add_f64 v[4:5], v[2:3], v[4:5]
	v_cndmask_b32_e32 v3, v3, v5, vcc
	v_cndmask_b32_e32 v2, v2, v4, vcc
	v_cmp_eq_u32_e32 vcc, 0, v1
	s_and_saveexec_b64 s[0:1], vcc
	s_cbranch_execz .LBB0_41
; %bb.40:
	v_lshrrev_b32_e32 v4, 3, v0
	v_and_b32_e32 v4, 24, v4
	ds_write_b64 v4, v[2:3] offset:32
.LBB0_41:
	s_or_b64 exec, exec, s[0:1]
	v_cmp_gt_u32_e32 vcc, 4, v0
	s_waitcnt lgkmcnt(0)
	s_barrier
	s_and_saveexec_b64 s[2:3], vcc
	s_cbranch_execz .LBB0_45
; %bb.42:
	v_lshlrev_b32_e32 v2, 3, v1
	ds_read_b64 v[2:3], v2 offset:32
	v_and_b32_e32 v8, 3, v1
	v_cmp_ne_u32_e32 vcc, 3, v8
	v_addc_co_u32_e32 v4, vcc, 0, v1, vcc
	v_lshlrev_b32_e32 v5, 2, v4
	s_waitcnt lgkmcnt(0)
	ds_bpermute_b32 v4, v5, v2
	ds_bpermute_b32 v5, v5, v3
	s_add_i32 s4, s4, 63
	v_cmp_gt_u32_e64 s[0:1], 2, v8
	s_lshr_b32 s4, s4, 6
	v_add_u32_e32 v6, 1, v8
	v_cndmask_b32_e64 v9, 0, 1, s[0:1]
	s_waitcnt lgkmcnt(0)
	v_add_f64 v[4:5], v[2:3], v[4:5]
	v_cmp_gt_u32_e32 vcc, s4, v6
	v_lshlrev_b32_e32 v9, 1, v9
	v_cndmask_b32_e32 v7, v3, v5, vcc
	v_cndmask_b32_e32 v6, v2, v4, vcc
	v_add_lshl_u32 v1, v9, v1, 2
	ds_bpermute_b32 v6, v1, v6
	ds_bpermute_b32 v7, v1, v7
	s_and_saveexec_b64 s[0:1], vcc
	s_cbranch_execz .LBB0_44
; %bb.43:
	v_add_u32_e32 v1, 2, v8
	s_waitcnt lgkmcnt(0)
	v_add_f64 v[2:3], v[4:5], v[6:7]
	v_cmp_gt_u32_e32 vcc, s4, v1
	v_cndmask_b32_e32 v3, v5, v3, vcc
	v_cndmask_b32_e32 v2, v4, v2, vcc
.LBB0_44:
	s_or_b64 exec, exec, s[0:1]
.LBB0_45:
	s_or_b64 exec, exec, s[2:3]
.LBB0_46:
	v_cmp_eq_u32_e32 vcc, 0, v0
	s_and_saveexec_b64 s[0:1], vcc
	s_cbranch_execnz .LBB0_48
; %bb.47:
	s_endpgm
.LBB0_48:
	s_lshl_b64 s[0:1], s[6:7], 3
	s_add_u32 s0, s40, s0
	s_addc_u32 s1, s41, s1
	s_cmp_eq_u64 s[38:39], 0
	v_mov_b32_e32 v0, s43
	s_cselect_b64 vcc, -1, 0
	v_cndmask_b32_e32 v1, v3, v0, vcc
	v_mov_b32_e32 v0, s42
	v_mov_b32_e32 v4, 0
	v_cndmask_b32_e32 v0, v2, v0, vcc
	global_store_dwordx2 v4, v[0:1], s[0:1]
	s_endpgm
	.section	.rodata,"a",@progbits
	.p2align	6, 0x0
	.amdhsa_kernel _ZN7rocprim6detail19block_reduce_kernelILb0ELb1ELj1ENS0_21wrapped_reduce_configINS_14default_configEdEEdPdS5_dNS_4plusIdEEEEvT4_mT5_T6_T7_
		.amdhsa_group_segment_fixed_size 64
		.amdhsa_private_segment_fixed_size 0
		.amdhsa_kernarg_size 36
		.amdhsa_user_sgpr_count 6
		.amdhsa_user_sgpr_private_segment_buffer 1
		.amdhsa_user_sgpr_dispatch_ptr 0
		.amdhsa_user_sgpr_queue_ptr 0
		.amdhsa_user_sgpr_kernarg_segment_ptr 1
		.amdhsa_user_sgpr_dispatch_id 0
		.amdhsa_user_sgpr_flat_scratch_init 0
		.amdhsa_user_sgpr_kernarg_preload_length 0
		.amdhsa_user_sgpr_kernarg_preload_offset 0
		.amdhsa_user_sgpr_private_segment_size 0
		.amdhsa_uses_dynamic_stack 0
		.amdhsa_system_sgpr_private_segment_wavefront_offset 0
		.amdhsa_system_sgpr_workgroup_id_x 1
		.amdhsa_system_sgpr_workgroup_id_y 0
		.amdhsa_system_sgpr_workgroup_id_z 0
		.amdhsa_system_sgpr_workgroup_info 0
		.amdhsa_system_vgpr_workitem_id 0
		.amdhsa_next_free_vgpr 40
		.amdhsa_next_free_sgpr 44
		.amdhsa_accum_offset 40
		.amdhsa_reserve_vcc 1
		.amdhsa_reserve_flat_scratch 0
		.amdhsa_float_round_mode_32 0
		.amdhsa_float_round_mode_16_64 0
		.amdhsa_float_denorm_mode_32 3
		.amdhsa_float_denorm_mode_16_64 3
		.amdhsa_dx10_clamp 1
		.amdhsa_ieee_mode 1
		.amdhsa_fp16_overflow 0
		.amdhsa_tg_split 0
		.amdhsa_exception_fp_ieee_invalid_op 0
		.amdhsa_exception_fp_denorm_src 0
		.amdhsa_exception_fp_ieee_div_zero 0
		.amdhsa_exception_fp_ieee_overflow 0
		.amdhsa_exception_fp_ieee_underflow 0
		.amdhsa_exception_fp_ieee_inexact 0
		.amdhsa_exception_int_div_zero 0
	.end_amdhsa_kernel
	.section	.text._ZN7rocprim6detail19block_reduce_kernelILb0ELb1ELj1ENS0_21wrapped_reduce_configINS_14default_configEdEEdPdS5_dNS_4plusIdEEEEvT4_mT5_T6_T7_,"axG",@progbits,_ZN7rocprim6detail19block_reduce_kernelILb0ELb1ELj1ENS0_21wrapped_reduce_configINS_14default_configEdEEdPdS5_dNS_4plusIdEEEEvT4_mT5_T6_T7_,comdat
.Lfunc_end0:
	.size	_ZN7rocprim6detail19block_reduce_kernelILb0ELb1ELj1ENS0_21wrapped_reduce_configINS_14default_configEdEEdPdS5_dNS_4plusIdEEEEvT4_mT5_T6_T7_, .Lfunc_end0-_ZN7rocprim6detail19block_reduce_kernelILb0ELb1ELj1ENS0_21wrapped_reduce_configINS_14default_configEdEEdPdS5_dNS_4plusIdEEEEvT4_mT5_T6_T7_
                                        ; -- End function
	.section	.AMDGPU.csdata,"",@progbits
; Kernel info:
; codeLenInByte = 2676
; NumSgprs: 48
; NumVgprs: 40
; NumAgprs: 0
; TotalNumVgprs: 40
; ScratchSize: 0
; MemoryBound: 1
; FloatMode: 240
; IeeeMode: 1
; LDSByteSize: 64 bytes/workgroup (compile time only)
; SGPRBlocks: 5
; VGPRBlocks: 4
; NumSGPRsForWavesPerEU: 48
; NumVGPRsForWavesPerEU: 40
; AccumOffset: 40
; Occupancy: 8
; WaveLimiterHint : 1
; COMPUTE_PGM_RSRC2:SCRATCH_EN: 0
; COMPUTE_PGM_RSRC2:USER_SGPR: 6
; COMPUTE_PGM_RSRC2:TRAP_HANDLER: 0
; COMPUTE_PGM_RSRC2:TGID_X_EN: 1
; COMPUTE_PGM_RSRC2:TGID_Y_EN: 0
; COMPUTE_PGM_RSRC2:TGID_Z_EN: 0
; COMPUTE_PGM_RSRC2:TIDIG_COMP_CNT: 0
; COMPUTE_PGM_RSRC3_GFX90A:ACCUM_OFFSET: 9
; COMPUTE_PGM_RSRC3_GFX90A:TG_SPLIT: 0
	.section	.text._ZN7rocprim6detail19block_reduce_kernelILb1ELb1ELj2ENS0_21wrapped_reduce_configINS_14default_configEdEEdPdS5_dNS_4plusIdEEEEvT4_mT5_T6_T7_,"axG",@progbits,_ZN7rocprim6detail19block_reduce_kernelILb1ELb1ELj2ENS0_21wrapped_reduce_configINS_14default_configEdEEdPdS5_dNS_4plusIdEEEEvT4_mT5_T6_T7_,comdat
	.protected	_ZN7rocprim6detail19block_reduce_kernelILb1ELb1ELj2ENS0_21wrapped_reduce_configINS_14default_configEdEEdPdS5_dNS_4plusIdEEEEvT4_mT5_T6_T7_ ; -- Begin function _ZN7rocprim6detail19block_reduce_kernelILb1ELb1ELj2ENS0_21wrapped_reduce_configINS_14default_configEdEEdPdS5_dNS_4plusIdEEEEvT4_mT5_T6_T7_
	.globl	_ZN7rocprim6detail19block_reduce_kernelILb1ELb1ELj2ENS0_21wrapped_reduce_configINS_14default_configEdEEdPdS5_dNS_4plusIdEEEEvT4_mT5_T6_T7_
	.p2align	8
	.type	_ZN7rocprim6detail19block_reduce_kernelILb1ELb1ELj2ENS0_21wrapped_reduce_configINS_14default_configEdEEdPdS5_dNS_4plusIdEEEEvT4_mT5_T6_T7_,@function
_ZN7rocprim6detail19block_reduce_kernelILb1ELb1ELj2ENS0_21wrapped_reduce_configINS_14default_configEdEEdPdS5_dNS_4plusIdEEEEvT4_mT5_T6_T7_: ; @_ZN7rocprim6detail19block_reduce_kernelILb1ELb1ELj2ENS0_21wrapped_reduce_configINS_14default_configEdEEdPdS5_dNS_4plusIdEEEEvT4_mT5_T6_T7_
; %bb.0:
	s_load_dwordx8 s[64:71], s[4:5], 0x0
	s_lshl_b32 s0, s6, 13
	s_mov_b32 s1, 0
	s_lshl_b64 s[4:5], s[0:1], 3
	s_mov_b32 s7, s1
	s_waitcnt lgkmcnt(0)
	s_lshr_b64 s[2:3], s[66:67], 13
	s_add_u32 s1, s64, s4
	s_addc_u32 s4, s65, s5
	v_lshlrev_b32_e32 v1, 3, v0
	v_mov_b32_e32 v3, s4
	v_add_co_u32_e32 v2, vcc, s1, v1
	s_cmp_lg_u64 s[2:3], s[6:7]
	v_addc_co_u32_e32 v3, vcc, 0, v3, vcc
	v_mbcnt_lo_u32_b32 v1, -1, 0
	s_cbranch_scc0 .LBB1_6
; %bb.1:
	v_add_co_u32_e32 v4, vcc, 0x1000, v2
	v_addc_co_u32_e32 v5, vcc, 0, v3, vcc
	global_load_dwordx2 v[6:7], v[2:3], off
	global_load_dwordx2 v[8:9], v[2:3], off offset:2048
	global_load_dwordx2 v[10:11], v[4:5], off
	global_load_dwordx2 v[12:13], v[4:5], off offset:2048
	v_add_co_u32_e32 v4, vcc, 0x2000, v2
	v_addc_co_u32_e32 v5, vcc, 0, v3, vcc
	v_add_co_u32_e32 v14, vcc, 0x3000, v2
	v_addc_co_u32_e32 v15, vcc, 0, v3, vcc
	global_load_dwordx2 v[16:17], v[4:5], off
	global_load_dwordx2 v[18:19], v[4:5], off offset:2048
	global_load_dwordx2 v[20:21], v[14:15], off
	global_load_dwordx2 v[22:23], v[14:15], off offset:2048
	v_add_co_u32_e32 v4, vcc, 0x4000, v2
	v_addc_co_u32_e32 v5, vcc, 0, v3, vcc
	;; [unrolled: 8-line block ×7, first 2 shown]
	v_add_co_u32_e32 v14, vcc, 0xf000, v2
	v_addc_co_u32_e32 v15, vcc, 0, v3, vcc
	global_load_dwordx2 v[64:65], v[4:5], off
	global_load_dwordx2 v[66:67], v[4:5], off offset:2048
	global_load_dwordx2 v[68:69], v[14:15], off
	global_load_dwordx2 v[70:71], v[14:15], off offset:2048
	s_waitcnt vmcnt(30)
	v_add_f64 v[4:5], v[6:7], v[8:9]
	s_waitcnt vmcnt(29)
	v_add_f64 v[4:5], v[4:5], v[10:11]
	;; [unrolled: 2-line block ×3, first 2 shown]
	v_mbcnt_hi_u32_b32 v6, -1, v1
	v_bfrev_b32_e32 v7, 0.5
	v_lshl_or_b32 v7, v6, 2, v7
	v_cmp_eq_u32_e32 vcc, 0, v6
	s_waitcnt vmcnt(27)
	v_add_f64 v[4:5], v[4:5], v[16:17]
	s_waitcnt vmcnt(26)
	v_add_f64 v[4:5], v[4:5], v[18:19]
	;; [unrolled: 2-line block ×28, first 2 shown]
	s_nop 1
	v_mov_b32_dpp v8, v4 quad_perm:[1,0,3,2] row_mask:0xf bank_mask:0xf
	v_mov_b32_dpp v9, v5 quad_perm:[1,0,3,2] row_mask:0xf bank_mask:0xf
	v_add_f64 v[4:5], v[4:5], v[8:9]
	s_nop 1
	v_mov_b32_dpp v8, v4 quad_perm:[2,3,0,1] row_mask:0xf bank_mask:0xf
	v_mov_b32_dpp v9, v5 quad_perm:[2,3,0,1] row_mask:0xf bank_mask:0xf
	v_add_f64 v[4:5], v[4:5], v[8:9]
	s_nop 1
	v_mov_b32_dpp v8, v4 row_ror:4 row_mask:0xf bank_mask:0xf
	v_mov_b32_dpp v9, v5 row_ror:4 row_mask:0xf bank_mask:0xf
	v_add_f64 v[4:5], v[4:5], v[8:9]
	s_nop 1
	v_mov_b32_dpp v8, v4 row_ror:8 row_mask:0xf bank_mask:0xf
	v_mov_b32_dpp v9, v5 row_ror:8 row_mask:0xf bank_mask:0xf
	v_add_f64 v[4:5], v[4:5], v[8:9]
	s_nop 1
	v_mov_b32_dpp v8, v4 row_bcast:15 row_mask:0xf bank_mask:0xf
	v_mov_b32_dpp v9, v5 row_bcast:15 row_mask:0xf bank_mask:0xf
	v_add_f64 v[4:5], v[4:5], v[8:9]
	s_nop 1
	v_mov_b32_dpp v8, v4 row_bcast:31 row_mask:0xf bank_mask:0xf
	v_mov_b32_dpp v9, v5 row_bcast:31 row_mask:0xf bank_mask:0xf
	v_add_f64 v[4:5], v[4:5], v[8:9]
	ds_bpermute_b32 v4, v7, v4
	ds_bpermute_b32 v5, v7, v5
	s_and_saveexec_b64 s[2:3], vcc
	s_cbranch_execz .LBB1_3
; %bb.2:
	v_lshrrev_b32_e32 v7, 3, v0
	v_and_b32_e32 v7, 24, v7
	s_waitcnt lgkmcnt(0)
	ds_write_b64 v7, v[4:5]
.LBB1_3:
	s_or_b64 exec, exec, s[2:3]
	v_cmp_gt_u32_e32 vcc, 64, v0
	s_waitcnt lgkmcnt(0)
	s_barrier
	s_and_saveexec_b64 s[2:3], vcc
	s_cbranch_execz .LBB1_5
; %bb.4:
	v_and_b32_e32 v7, 3, v6
	v_lshlrev_b32_e32 v4, 3, v7
	ds_read_b64 v[4:5], v4
	v_cmp_ne_u32_e32 vcc, 3, v7
	v_addc_co_u32_e32 v8, vcc, 0, v6, vcc
	v_lshlrev_b32_e32 v9, 2, v8
	s_waitcnt lgkmcnt(0)
	ds_bpermute_b32 v8, v9, v4
	ds_bpermute_b32 v9, v9, v5
	v_cmp_gt_u32_e32 vcc, 2, v7
	v_cndmask_b32_e64 v7, 0, 1, vcc
	v_lshlrev_b32_e32 v7, 1, v7
	v_add_lshl_u32 v7, v7, v6, 2
	s_waitcnt lgkmcnt(0)
	v_add_f64 v[4:5], v[4:5], v[8:9]
	ds_bpermute_b32 v6, v7, v4
	ds_bpermute_b32 v7, v7, v5
	s_waitcnt lgkmcnt(0)
	v_add_f64 v[4:5], v[4:5], v[6:7]
.LBB1_5:
	s_or_b64 exec, exec, s[2:3]
	s_branch .LBB1_78
.LBB1_6:
                                        ; implicit-def: $vgpr4_vgpr5
	s_cbranch_execz .LBB1_78
; %bb.7:
	s_sub_i32 s33, s66, s0
	v_cmp_gt_u32_e32 vcc, s33, v0
                                        ; implicit-def: $vgpr4_vgpr5
	s_and_saveexec_b64 s[0:1], vcc
	s_cbranch_execz .LBB1_9
; %bb.8:
	global_load_dwordx2 v[4:5], v[2:3], off
.LBB1_9:
	s_or_b64 exec, exec, s[0:1]
	v_or_b32_e32 v6, 0x100, v0
	v_cmp_gt_u32_e64 s[0:1], s33, v6
                                        ; implicit-def: $vgpr6_vgpr7
	s_and_saveexec_b64 s[2:3], s[0:1]
	s_cbranch_execz .LBB1_11
; %bb.10:
	global_load_dwordx2 v[6:7], v[2:3], off offset:2048
.LBB1_11:
	s_or_b64 exec, exec, s[2:3]
	v_or_b32_e32 v8, 0x200, v0
	v_cmp_gt_u32_e64 s[2:3], s33, v8
                                        ; implicit-def: $vgpr8_vgpr9
	s_and_saveexec_b64 s[4:5], s[2:3]
	s_cbranch_execz .LBB1_13
; %bb.12:
	v_add_co_u32_e32 v8, vcc, 0x1000, v2
	v_addc_co_u32_e32 v9, vcc, 0, v3, vcc
	global_load_dwordx2 v[8:9], v[8:9], off
.LBB1_13:
	s_or_b64 exec, exec, s[4:5]
	v_or_b32_e32 v10, 0x300, v0
	v_cmp_gt_u32_e64 s[4:5], s33, v10
                                        ; implicit-def: $vgpr10_vgpr11
	s_and_saveexec_b64 s[8:9], s[4:5]
	s_cbranch_execz .LBB1_15
; %bb.14:
	v_add_co_u32_e32 v10, vcc, 0x1000, v2
	v_addc_co_u32_e32 v11, vcc, 0, v3, vcc
	global_load_dwordx2 v[10:11], v[10:11], off offset:2048
.LBB1_15:
	s_or_b64 exec, exec, s[8:9]
	v_or_b32_e32 v12, 0x400, v0
	v_cmp_gt_u32_e64 s[8:9], s33, v12
                                        ; implicit-def: $vgpr12_vgpr13
	s_and_saveexec_b64 s[10:11], s[8:9]
	s_cbranch_execz .LBB1_17
; %bb.16:
	v_add_co_u32_e32 v12, vcc, 0x2000, v2
	v_addc_co_u32_e32 v13, vcc, 0, v3, vcc
	global_load_dwordx2 v[12:13], v[12:13], off
.LBB1_17:
	s_or_b64 exec, exec, s[10:11]
	v_or_b32_e32 v14, 0x500, v0
	v_cmp_gt_u32_e64 s[10:11], s33, v14
                                        ; implicit-def: $vgpr14_vgpr15
	s_and_saveexec_b64 s[12:13], s[10:11]
	s_cbranch_execz .LBB1_19
; %bb.18:
	v_add_co_u32_e32 v14, vcc, 0x2000, v2
	v_addc_co_u32_e32 v15, vcc, 0, v3, vcc
	global_load_dwordx2 v[14:15], v[14:15], off offset:2048
.LBB1_19:
	s_or_b64 exec, exec, s[12:13]
	v_or_b32_e32 v16, 0x600, v0
	v_cmp_gt_u32_e64 s[12:13], s33, v16
                                        ; implicit-def: $vgpr16_vgpr17
	s_and_saveexec_b64 s[14:15], s[12:13]
	s_cbranch_execz .LBB1_21
; %bb.20:
	v_add_co_u32_e32 v16, vcc, 0x3000, v2
	v_addc_co_u32_e32 v17, vcc, 0, v3, vcc
	global_load_dwordx2 v[16:17], v[16:17], off
.LBB1_21:
	s_or_b64 exec, exec, s[14:15]
	v_or_b32_e32 v18, 0x700, v0
	v_cmp_gt_u32_e64 s[14:15], s33, v18
                                        ; implicit-def: $vgpr18_vgpr19
	s_and_saveexec_b64 s[16:17], s[14:15]
	s_cbranch_execz .LBB1_23
; %bb.22:
	v_add_co_u32_e32 v18, vcc, 0x3000, v2
	v_addc_co_u32_e32 v19, vcc, 0, v3, vcc
	global_load_dwordx2 v[18:19], v[18:19], off offset:2048
.LBB1_23:
	s_or_b64 exec, exec, s[16:17]
	v_or_b32_e32 v20, 0x800, v0
	v_cmp_gt_u32_e64 s[16:17], s33, v20
                                        ; implicit-def: $vgpr20_vgpr21
	s_and_saveexec_b64 s[18:19], s[16:17]
	s_cbranch_execz .LBB1_25
; %bb.24:
	v_add_co_u32_e32 v20, vcc, 0x4000, v2
	v_addc_co_u32_e32 v21, vcc, 0, v3, vcc
	global_load_dwordx2 v[20:21], v[20:21], off
.LBB1_25:
	s_or_b64 exec, exec, s[18:19]
	v_or_b32_e32 v22, 0x900, v0
	v_cmp_gt_u32_e64 s[18:19], s33, v22
                                        ; implicit-def: $vgpr22_vgpr23
	s_and_saveexec_b64 s[20:21], s[18:19]
	s_cbranch_execz .LBB1_27
; %bb.26:
	v_add_co_u32_e32 v22, vcc, 0x4000, v2
	v_addc_co_u32_e32 v23, vcc, 0, v3, vcc
	global_load_dwordx2 v[22:23], v[22:23], off offset:2048
.LBB1_27:
	s_or_b64 exec, exec, s[20:21]
	v_or_b32_e32 v24, 0xa00, v0
	v_cmp_gt_u32_e64 s[20:21], s33, v24
                                        ; implicit-def: $vgpr24_vgpr25
	s_and_saveexec_b64 s[22:23], s[20:21]
	s_cbranch_execz .LBB1_29
; %bb.28:
	v_add_co_u32_e32 v24, vcc, 0x5000, v2
	v_addc_co_u32_e32 v25, vcc, 0, v3, vcc
	global_load_dwordx2 v[24:25], v[24:25], off
.LBB1_29:
	s_or_b64 exec, exec, s[22:23]
	v_or_b32_e32 v26, 0xb00, v0
	v_cmp_gt_u32_e64 s[22:23], s33, v26
                                        ; implicit-def: $vgpr26_vgpr27
	s_and_saveexec_b64 s[24:25], s[22:23]
	s_cbranch_execz .LBB1_31
; %bb.30:
	v_add_co_u32_e32 v26, vcc, 0x5000, v2
	v_addc_co_u32_e32 v27, vcc, 0, v3, vcc
	global_load_dwordx2 v[26:27], v[26:27], off offset:2048
.LBB1_31:
	s_or_b64 exec, exec, s[24:25]
	v_or_b32_e32 v28, 0xc00, v0
	v_cmp_gt_u32_e64 s[24:25], s33, v28
                                        ; implicit-def: $vgpr28_vgpr29
	s_and_saveexec_b64 s[26:27], s[24:25]
	s_cbranch_execz .LBB1_33
; %bb.32:
	v_add_co_u32_e32 v28, vcc, 0x6000, v2
	v_addc_co_u32_e32 v29, vcc, 0, v3, vcc
	global_load_dwordx2 v[28:29], v[28:29], off
.LBB1_33:
	s_or_b64 exec, exec, s[26:27]
	v_or_b32_e32 v30, 0xd00, v0
	v_cmp_gt_u32_e64 s[26:27], s33, v30
                                        ; implicit-def: $vgpr30_vgpr31
	s_and_saveexec_b64 s[28:29], s[26:27]
	s_cbranch_execz .LBB1_35
; %bb.34:
	v_add_co_u32_e32 v30, vcc, 0x6000, v2
	v_addc_co_u32_e32 v31, vcc, 0, v3, vcc
	global_load_dwordx2 v[30:31], v[30:31], off offset:2048
.LBB1_35:
	s_or_b64 exec, exec, s[28:29]
	v_or_b32_e32 v32, 0xe00, v0
	v_cmp_gt_u32_e64 s[28:29], s33, v32
                                        ; implicit-def: $vgpr32_vgpr33
	s_and_saveexec_b64 s[30:31], s[28:29]
	s_cbranch_execz .LBB1_37
; %bb.36:
	v_add_co_u32_e32 v32, vcc, 0x7000, v2
	v_addc_co_u32_e32 v33, vcc, 0, v3, vcc
	global_load_dwordx2 v[32:33], v[32:33], off
.LBB1_37:
	s_or_b64 exec, exec, s[30:31]
	v_or_b32_e32 v34, 0xf00, v0
	v_cmp_gt_u32_e64 s[30:31], s33, v34
                                        ; implicit-def: $vgpr34_vgpr35
	s_and_saveexec_b64 s[34:35], s[30:31]
	s_cbranch_execz .LBB1_39
; %bb.38:
	v_add_co_u32_e32 v34, vcc, 0x7000, v2
	v_addc_co_u32_e32 v35, vcc, 0, v3, vcc
	global_load_dwordx2 v[34:35], v[34:35], off offset:2048
.LBB1_39:
	s_or_b64 exec, exec, s[34:35]
	v_or_b32_e32 v36, 0x1000, v0
	v_cmp_gt_u32_e64 s[34:35], s33, v36
                                        ; implicit-def: $vgpr36_vgpr37
	s_and_saveexec_b64 s[36:37], s[34:35]
	s_cbranch_execz .LBB1_41
; %bb.40:
	v_add_co_u32_e32 v36, vcc, 0x8000, v2
	v_addc_co_u32_e32 v37, vcc, 0, v3, vcc
	global_load_dwordx2 v[36:37], v[36:37], off
.LBB1_41:
	s_or_b64 exec, exec, s[36:37]
	v_or_b32_e32 v38, 0x1100, v0
	v_cmp_gt_u32_e64 s[36:37], s33, v38
                                        ; implicit-def: $vgpr38_vgpr39
	s_and_saveexec_b64 s[38:39], s[36:37]
	s_cbranch_execz .LBB1_43
; %bb.42:
	v_add_co_u32_e32 v38, vcc, 0x8000, v2
	v_addc_co_u32_e32 v39, vcc, 0, v3, vcc
	global_load_dwordx2 v[38:39], v[38:39], off offset:2048
.LBB1_43:
	s_or_b64 exec, exec, s[38:39]
	v_or_b32_e32 v40, 0x1200, v0
	v_cmp_gt_u32_e64 s[38:39], s33, v40
                                        ; implicit-def: $vgpr40_vgpr41
	s_and_saveexec_b64 s[40:41], s[38:39]
	s_cbranch_execz .LBB1_45
; %bb.44:
	v_add_co_u32_e32 v40, vcc, 0x9000, v2
	v_addc_co_u32_e32 v41, vcc, 0, v3, vcc
	global_load_dwordx2 v[40:41], v[40:41], off
.LBB1_45:
	s_or_b64 exec, exec, s[40:41]
	v_or_b32_e32 v42, 0x1300, v0
	v_cmp_gt_u32_e64 s[40:41], s33, v42
                                        ; implicit-def: $vgpr42_vgpr43
	s_and_saveexec_b64 s[42:43], s[40:41]
	s_cbranch_execz .LBB1_47
; %bb.46:
	v_add_co_u32_e32 v42, vcc, 0x9000, v2
	v_addc_co_u32_e32 v43, vcc, 0, v3, vcc
	global_load_dwordx2 v[42:43], v[42:43], off offset:2048
.LBB1_47:
	s_or_b64 exec, exec, s[42:43]
	v_or_b32_e32 v44, 0x1400, v0
	v_cmp_gt_u32_e64 s[42:43], s33, v44
                                        ; implicit-def: $vgpr44_vgpr45
	s_and_saveexec_b64 s[44:45], s[42:43]
	s_cbranch_execz .LBB1_49
; %bb.48:
	v_add_co_u32_e32 v44, vcc, 0xa000, v2
	v_addc_co_u32_e32 v45, vcc, 0, v3, vcc
	global_load_dwordx2 v[44:45], v[44:45], off
.LBB1_49:
	s_or_b64 exec, exec, s[44:45]
	v_or_b32_e32 v46, 0x1500, v0
	v_cmp_gt_u32_e64 s[44:45], s33, v46
                                        ; implicit-def: $vgpr46_vgpr47
	s_and_saveexec_b64 s[46:47], s[44:45]
	s_cbranch_execz .LBB1_51
; %bb.50:
	v_add_co_u32_e32 v46, vcc, 0xa000, v2
	v_addc_co_u32_e32 v47, vcc, 0, v3, vcc
	global_load_dwordx2 v[46:47], v[46:47], off offset:2048
.LBB1_51:
	s_or_b64 exec, exec, s[46:47]
	v_or_b32_e32 v48, 0x1600, v0
	v_cmp_gt_u32_e64 s[46:47], s33, v48
                                        ; implicit-def: $vgpr48_vgpr49
	s_and_saveexec_b64 s[48:49], s[46:47]
	s_cbranch_execz .LBB1_53
; %bb.52:
	v_add_co_u32_e32 v48, vcc, 0xb000, v2
	v_addc_co_u32_e32 v49, vcc, 0, v3, vcc
	global_load_dwordx2 v[48:49], v[48:49], off
.LBB1_53:
	s_or_b64 exec, exec, s[48:49]
	v_or_b32_e32 v50, 0x1700, v0
	v_cmp_gt_u32_e64 s[48:49], s33, v50
                                        ; implicit-def: $vgpr50_vgpr51
	s_and_saveexec_b64 s[50:51], s[48:49]
	s_cbranch_execz .LBB1_55
; %bb.54:
	v_add_co_u32_e32 v50, vcc, 0xb000, v2
	v_addc_co_u32_e32 v51, vcc, 0, v3, vcc
	global_load_dwordx2 v[50:51], v[50:51], off offset:2048
.LBB1_55:
	s_or_b64 exec, exec, s[50:51]
	v_or_b32_e32 v52, 0x1800, v0
	v_cmp_gt_u32_e64 s[50:51], s33, v52
                                        ; implicit-def: $vgpr52_vgpr53
	s_and_saveexec_b64 s[52:53], s[50:51]
	s_cbranch_execz .LBB1_57
; %bb.56:
	v_add_co_u32_e32 v52, vcc, 0xc000, v2
	v_addc_co_u32_e32 v53, vcc, 0, v3, vcc
	global_load_dwordx2 v[52:53], v[52:53], off
.LBB1_57:
	s_or_b64 exec, exec, s[52:53]
	v_or_b32_e32 v54, 0x1900, v0
	v_cmp_gt_u32_e64 s[52:53], s33, v54
                                        ; implicit-def: $vgpr54_vgpr55
	s_and_saveexec_b64 s[54:55], s[52:53]
	s_cbranch_execz .LBB1_59
; %bb.58:
	v_add_co_u32_e32 v54, vcc, 0xc000, v2
	v_addc_co_u32_e32 v55, vcc, 0, v3, vcc
	global_load_dwordx2 v[54:55], v[54:55], off offset:2048
.LBB1_59:
	s_or_b64 exec, exec, s[54:55]
	v_or_b32_e32 v56, 0x1a00, v0
	v_cmp_gt_u32_e64 s[54:55], s33, v56
                                        ; implicit-def: $vgpr56_vgpr57
	s_and_saveexec_b64 s[56:57], s[54:55]
	s_cbranch_execz .LBB1_61
; %bb.60:
	v_add_co_u32_e32 v56, vcc, 0xd000, v2
	v_addc_co_u32_e32 v57, vcc, 0, v3, vcc
	global_load_dwordx2 v[56:57], v[56:57], off
.LBB1_61:
	s_or_b64 exec, exec, s[56:57]
	v_or_b32_e32 v58, 0x1b00, v0
	v_cmp_gt_u32_e64 s[56:57], s33, v58
                                        ; implicit-def: $vgpr58_vgpr59
	s_and_saveexec_b64 s[58:59], s[56:57]
	s_cbranch_execz .LBB1_63
; %bb.62:
	v_add_co_u32_e32 v58, vcc, 0xd000, v2
	v_addc_co_u32_e32 v59, vcc, 0, v3, vcc
	global_load_dwordx2 v[58:59], v[58:59], off offset:2048
.LBB1_63:
	s_or_b64 exec, exec, s[58:59]
	v_or_b32_e32 v60, 0x1c00, v0
	v_cmp_gt_u32_e64 s[58:59], s33, v60
                                        ; implicit-def: $vgpr60_vgpr61
	s_and_saveexec_b64 s[60:61], s[58:59]
	s_cbranch_execz .LBB1_65
; %bb.64:
	v_add_co_u32_e32 v60, vcc, 0xe000, v2
	v_addc_co_u32_e32 v61, vcc, 0, v3, vcc
	global_load_dwordx2 v[60:61], v[60:61], off
.LBB1_65:
	s_or_b64 exec, exec, s[60:61]
	v_or_b32_e32 v62, 0x1d00, v0
	v_cmp_gt_u32_e64 s[60:61], s33, v62
                                        ; implicit-def: $vgpr62_vgpr63
	s_and_saveexec_b64 s[62:63], s[60:61]
	s_cbranch_execz .LBB1_67
; %bb.66:
	v_add_co_u32_e32 v62, vcc, 0xe000, v2
	v_addc_co_u32_e32 v63, vcc, 0, v3, vcc
	global_load_dwordx2 v[62:63], v[62:63], off offset:2048
.LBB1_67:
	s_or_b64 exec, exec, s[62:63]
	v_or_b32_e32 v64, 0x1e00, v0
	v_cmp_gt_u32_e64 s[62:63], s33, v64
                                        ; implicit-def: $vgpr64_vgpr65
	s_and_saveexec_b64 s[64:65], s[62:63]
	s_cbranch_execz .LBB1_69
; %bb.68:
	v_add_co_u32_e32 v64, vcc, 0xf000, v2
	v_addc_co_u32_e32 v65, vcc, 0, v3, vcc
	global_load_dwordx2 v[64:65], v[64:65], off
.LBB1_69:
	s_or_b64 exec, exec, s[64:65]
	v_or_b32_e32 v66, 0x1f00, v0
	v_cmp_gt_u32_e64 s[64:65], s33, v66
                                        ; implicit-def: $vgpr66_vgpr67
	s_and_saveexec_b64 s[72:73], s[64:65]
	s_cbranch_execz .LBB1_71
; %bb.70:
	v_add_co_u32_e32 v2, vcc, 0xf000, v2
	v_addc_co_u32_e32 v3, vcc, 0, v3, vcc
	global_load_dwordx2 v[66:67], v[2:3], off offset:2048
.LBB1_71:
	s_or_b64 exec, exec, s[72:73]
	s_waitcnt vmcnt(0)
	v_add_f64 v[2:3], v[4:5], v[6:7]
	v_cndmask_b32_e64 v3, v5, v3, s[0:1]
	v_cndmask_b32_e64 v2, v4, v2, s[0:1]
	v_add_f64 v[4:5], v[2:3], v[8:9]
	v_cndmask_b32_e64 v3, v3, v5, s[2:3]
	v_cndmask_b32_e64 v2, v2, v4, s[2:3]
	;; [unrolled: 3-line block ×29, first 2 shown]
	v_add_f64 v[4:5], v[2:3], v[64:65]
	v_mbcnt_hi_u32_b32 v1, -1, v1
	v_cndmask_b32_e64 v3, v3, v5, s[62:63]
	v_cndmask_b32_e64 v2, v2, v4, s[62:63]
	v_and_b32_e32 v6, 63, v1
	v_add_f64 v[4:5], v[2:3], v[66:67]
	v_cmp_ne_u32_e32 vcc, 63, v6
	v_cndmask_b32_e64 v2, v2, v4, s[64:65]
	v_addc_co_u32_e32 v4, vcc, 0, v1, vcc
	v_cndmask_b32_e64 v3, v3, v5, s[64:65]
	v_lshlrev_b32_e32 v5, 2, v4
	ds_bpermute_b32 v4, v5, v2
	ds_bpermute_b32 v5, v5, v3
	s_min_u32 s4, s33, 0x100
	v_and_b32_e32 v7, 0xc0, v0
	v_sub_u32_e64 v7, s4, v7 clamp
	v_add_u32_e32 v8, 1, v1
	s_waitcnt lgkmcnt(0)
	v_add_f64 v[4:5], v[2:3], v[4:5]
	v_cmp_lt_u32_e32 vcc, v8, v7
	v_cndmask_b32_e32 v2, v2, v4, vcc
	v_cndmask_b32_e32 v3, v3, v5, vcc
	v_cmp_gt_u32_e32 vcc, 62, v6
	v_cndmask_b32_e64 v4, 0, 1, vcc
	v_lshlrev_b32_e32 v4, 1, v4
	v_add_lshl_u32 v5, v4, v1, 2
	ds_bpermute_b32 v4, v5, v2
	ds_bpermute_b32 v5, v5, v3
	v_add_u32_e32 v8, 2, v1
	v_cmp_lt_u32_e32 vcc, v8, v7
	v_add_u32_e32 v8, 4, v1
	v_cmp_gt_u32_e64 s[0:1], 32, v6
	s_waitcnt lgkmcnt(0)
	v_add_f64 v[4:5], v[2:3], v[4:5]
	v_cndmask_b32_e32 v2, v2, v4, vcc
	v_cndmask_b32_e32 v3, v3, v5, vcc
	v_cmp_gt_u32_e32 vcc, 60, v6
	v_cndmask_b32_e64 v4, 0, 1, vcc
	v_lshlrev_b32_e32 v4, 2, v4
	v_add_lshl_u32 v5, v4, v1, 2
	ds_bpermute_b32 v4, v5, v2
	ds_bpermute_b32 v5, v5, v3
	v_cmp_lt_u32_e32 vcc, v8, v7
	v_add_u32_e32 v8, 8, v1
	s_waitcnt lgkmcnt(0)
	v_add_f64 v[4:5], v[2:3], v[4:5]
	v_cndmask_b32_e32 v2, v2, v4, vcc
	v_cndmask_b32_e32 v3, v3, v5, vcc
	v_cmp_gt_u32_e32 vcc, 56, v6
	v_cndmask_b32_e64 v4, 0, 1, vcc
	v_lshlrev_b32_e32 v4, 3, v4
	v_add_lshl_u32 v5, v4, v1, 2
	ds_bpermute_b32 v4, v5, v2
	ds_bpermute_b32 v5, v5, v3
	v_cmp_lt_u32_e32 vcc, v8, v7
	v_add_u32_e32 v8, 16, v1
	s_waitcnt lgkmcnt(0)
	v_add_f64 v[4:5], v[2:3], v[4:5]
	v_cndmask_b32_e32 v2, v2, v4, vcc
	v_cndmask_b32_e32 v3, v3, v5, vcc
	v_cmp_gt_u32_e32 vcc, 48, v6
	v_cndmask_b32_e64 v4, 0, 1, vcc
	v_lshlrev_b32_e32 v4, 4, v4
	v_add_lshl_u32 v5, v4, v1, 2
	ds_bpermute_b32 v4, v5, v2
	ds_bpermute_b32 v5, v5, v3
	v_cmp_lt_u32_e32 vcc, v8, v7
	s_waitcnt lgkmcnt(0)
	v_add_f64 v[4:5], v[2:3], v[4:5]
	v_cndmask_b32_e32 v2, v2, v4, vcc
	v_cndmask_b32_e64 v4, 0, 1, s[0:1]
	v_lshlrev_b32_e32 v4, 5, v4
	v_add_lshl_u32 v6, v4, v1, 2
	v_cndmask_b32_e32 v3, v3, v5, vcc
	ds_bpermute_b32 v4, v6, v2
	ds_bpermute_b32 v5, v6, v3
	v_add_u32_e32 v6, 32, v1
	v_cmp_lt_u32_e32 vcc, v6, v7
	s_waitcnt lgkmcnt(0)
	v_add_f64 v[4:5], v[2:3], v[4:5]
	v_cndmask_b32_e32 v5, v3, v5, vcc
	v_cndmask_b32_e32 v4, v2, v4, vcc
	v_cmp_eq_u32_e32 vcc, 0, v1
	s_and_saveexec_b64 s[0:1], vcc
	s_cbranch_execz .LBB1_73
; %bb.72:
	v_lshrrev_b32_e32 v2, 3, v0
	v_and_b32_e32 v2, 24, v2
	ds_write_b64 v2, v[4:5] offset:32
.LBB1_73:
	s_or_b64 exec, exec, s[0:1]
	v_cmp_gt_u32_e32 vcc, 4, v0
	s_waitcnt lgkmcnt(0)
	s_barrier
	s_and_saveexec_b64 s[2:3], vcc
	s_cbranch_execz .LBB1_77
; %bb.74:
	v_lshlrev_b32_e32 v2, 3, v1
	ds_read_b64 v[4:5], v2 offset:32
	v_and_b32_e32 v8, 3, v1
	v_cmp_ne_u32_e32 vcc, 3, v8
	v_addc_co_u32_e32 v2, vcc, 0, v1, vcc
	v_lshlrev_b32_e32 v3, 2, v2
	s_waitcnt lgkmcnt(0)
	ds_bpermute_b32 v2, v3, v4
	ds_bpermute_b32 v3, v3, v5
	s_add_i32 s4, s4, 63
	v_cmp_gt_u32_e64 s[0:1], 2, v8
	s_lshr_b32 s4, s4, 6
	v_add_u32_e32 v6, 1, v8
	v_cndmask_b32_e64 v9, 0, 1, s[0:1]
	s_waitcnt lgkmcnt(0)
	v_add_f64 v[2:3], v[4:5], v[2:3]
	v_cmp_gt_u32_e32 vcc, s4, v6
	v_lshlrev_b32_e32 v9, 1, v9
	v_cndmask_b32_e32 v7, v5, v3, vcc
	v_cndmask_b32_e32 v6, v4, v2, vcc
	v_add_lshl_u32 v1, v9, v1, 2
	ds_bpermute_b32 v6, v1, v6
	ds_bpermute_b32 v7, v1, v7
	s_and_saveexec_b64 s[0:1], vcc
	s_cbranch_execz .LBB1_76
; %bb.75:
	v_add_u32_e32 v1, 2, v8
	s_waitcnt lgkmcnt(0)
	v_add_f64 v[4:5], v[2:3], v[6:7]
	v_cmp_gt_u32_e32 vcc, s4, v1
	v_cndmask_b32_e32 v5, v3, v5, vcc
	v_cndmask_b32_e32 v4, v2, v4, vcc
.LBB1_76:
	s_or_b64 exec, exec, s[0:1]
.LBB1_77:
	s_or_b64 exec, exec, s[2:3]
.LBB1_78:
	v_cmp_eq_u32_e32 vcc, 0, v0
	s_and_saveexec_b64 s[0:1], vcc
	s_cbranch_execnz .LBB1_80
; %bb.79:
	s_endpgm
.LBB1_80:
	s_lshl_b64 s[0:1], s[6:7], 3
	s_add_u32 s0, s68, s0
	s_addc_u32 s1, s69, s1
	s_cmp_eq_u64 s[66:67], 0
	v_add_f64 v[0:1], v[4:5], s[70:71]
	v_mov_b32_e32 v3, s71
	s_cselect_b64 vcc, -1, 0
	v_cndmask_b32_e32 v1, v1, v3, vcc
	v_mov_b32_e32 v3, s70
	v_mov_b32_e32 v2, 0
	v_cndmask_b32_e32 v0, v0, v3, vcc
	global_store_dwordx2 v2, v[0:1], s[0:1]
	s_endpgm
	.section	.rodata,"a",@progbits
	.p2align	6, 0x0
	.amdhsa_kernel _ZN7rocprim6detail19block_reduce_kernelILb1ELb1ELj2ENS0_21wrapped_reduce_configINS_14default_configEdEEdPdS5_dNS_4plusIdEEEEvT4_mT5_T6_T7_
		.amdhsa_group_segment_fixed_size 64
		.amdhsa_private_segment_fixed_size 0
		.amdhsa_kernarg_size 36
		.amdhsa_user_sgpr_count 6
		.amdhsa_user_sgpr_private_segment_buffer 1
		.amdhsa_user_sgpr_dispatch_ptr 0
		.amdhsa_user_sgpr_queue_ptr 0
		.amdhsa_user_sgpr_kernarg_segment_ptr 1
		.amdhsa_user_sgpr_dispatch_id 0
		.amdhsa_user_sgpr_flat_scratch_init 0
		.amdhsa_user_sgpr_kernarg_preload_length 0
		.amdhsa_user_sgpr_kernarg_preload_offset 0
		.amdhsa_user_sgpr_private_segment_size 0
		.amdhsa_uses_dynamic_stack 0
		.amdhsa_system_sgpr_private_segment_wavefront_offset 0
		.amdhsa_system_sgpr_workgroup_id_x 1
		.amdhsa_system_sgpr_workgroup_id_y 0
		.amdhsa_system_sgpr_workgroup_id_z 0
		.amdhsa_system_sgpr_workgroup_info 0
		.amdhsa_system_vgpr_workitem_id 0
		.amdhsa_next_free_vgpr 72
		.amdhsa_next_free_sgpr 74
		.amdhsa_accum_offset 72
		.amdhsa_reserve_vcc 1
		.amdhsa_reserve_flat_scratch 0
		.amdhsa_float_round_mode_32 0
		.amdhsa_float_round_mode_16_64 0
		.amdhsa_float_denorm_mode_32 3
		.amdhsa_float_denorm_mode_16_64 3
		.amdhsa_dx10_clamp 1
		.amdhsa_ieee_mode 1
		.amdhsa_fp16_overflow 0
		.amdhsa_tg_split 0
		.amdhsa_exception_fp_ieee_invalid_op 0
		.amdhsa_exception_fp_denorm_src 0
		.amdhsa_exception_fp_ieee_div_zero 0
		.amdhsa_exception_fp_ieee_overflow 0
		.amdhsa_exception_fp_ieee_underflow 0
		.amdhsa_exception_fp_ieee_inexact 0
		.amdhsa_exception_int_div_zero 0
	.end_amdhsa_kernel
	.section	.text._ZN7rocprim6detail19block_reduce_kernelILb1ELb1ELj2ENS0_21wrapped_reduce_configINS_14default_configEdEEdPdS5_dNS_4plusIdEEEEvT4_mT5_T6_T7_,"axG",@progbits,_ZN7rocprim6detail19block_reduce_kernelILb1ELb1ELj2ENS0_21wrapped_reduce_configINS_14default_configEdEEdPdS5_dNS_4plusIdEEEEvT4_mT5_T6_T7_,comdat
.Lfunc_end1:
	.size	_ZN7rocprim6detail19block_reduce_kernelILb1ELb1ELj2ENS0_21wrapped_reduce_configINS_14default_configEdEEdPdS5_dNS_4plusIdEEEEvT4_mT5_T6_T7_, .Lfunc_end1-_ZN7rocprim6detail19block_reduce_kernelILb1ELb1ELj2ENS0_21wrapped_reduce_configINS_14default_configEdEEdPdS5_dNS_4plusIdEEEEvT4_mT5_T6_T7_
                                        ; -- End function
	.section	.AMDGPU.csdata,"",@progbits
; Kernel info:
; codeLenInByte = 4252
; NumSgprs: 78
; NumVgprs: 72
; NumAgprs: 0
; TotalNumVgprs: 72
; ScratchSize: 0
; MemoryBound: 0
; FloatMode: 240
; IeeeMode: 1
; LDSByteSize: 64 bytes/workgroup (compile time only)
; SGPRBlocks: 9
; VGPRBlocks: 8
; NumSGPRsForWavesPerEU: 78
; NumVGPRsForWavesPerEU: 72
; AccumOffset: 72
; Occupancy: 7
; WaveLimiterHint : 1
; COMPUTE_PGM_RSRC2:SCRATCH_EN: 0
; COMPUTE_PGM_RSRC2:USER_SGPR: 6
; COMPUTE_PGM_RSRC2:TRAP_HANDLER: 0
; COMPUTE_PGM_RSRC2:TGID_X_EN: 1
; COMPUTE_PGM_RSRC2:TGID_Y_EN: 0
; COMPUTE_PGM_RSRC2:TGID_Z_EN: 0
; COMPUTE_PGM_RSRC2:TIDIG_COMP_CNT: 0
; COMPUTE_PGM_RSRC3_GFX90A:ACCUM_OFFSET: 17
; COMPUTE_PGM_RSRC3_GFX90A:TG_SPLIT: 0
	.section	.text._ZN7rocprim6detail19block_reduce_kernelILb1ELb1ELj4ENS0_21wrapped_reduce_configINS_14default_configEdEEdPdS5_dNS_4plusIdEEEEvT4_mT5_T6_T7_,"axG",@progbits,_ZN7rocprim6detail19block_reduce_kernelILb1ELb1ELj4ENS0_21wrapped_reduce_configINS_14default_configEdEEdPdS5_dNS_4plusIdEEEEvT4_mT5_T6_T7_,comdat
	.protected	_ZN7rocprim6detail19block_reduce_kernelILb1ELb1ELj4ENS0_21wrapped_reduce_configINS_14default_configEdEEdPdS5_dNS_4plusIdEEEEvT4_mT5_T6_T7_ ; -- Begin function _ZN7rocprim6detail19block_reduce_kernelILb1ELb1ELj4ENS0_21wrapped_reduce_configINS_14default_configEdEEdPdS5_dNS_4plusIdEEEEvT4_mT5_T6_T7_
	.globl	_ZN7rocprim6detail19block_reduce_kernelILb1ELb1ELj4ENS0_21wrapped_reduce_configINS_14default_configEdEEdPdS5_dNS_4plusIdEEEEvT4_mT5_T6_T7_
	.p2align	8
	.type	_ZN7rocprim6detail19block_reduce_kernelILb1ELb1ELj4ENS0_21wrapped_reduce_configINS_14default_configEdEEdPdS5_dNS_4plusIdEEEEvT4_mT5_T6_T7_,@function
_ZN7rocprim6detail19block_reduce_kernelILb1ELb1ELj4ENS0_21wrapped_reduce_configINS_14default_configEdEEdPdS5_dNS_4plusIdEEEEvT4_mT5_T6_T7_: ; @_ZN7rocprim6detail19block_reduce_kernelILb1ELb1ELj4ENS0_21wrapped_reduce_configINS_14default_configEdEEdPdS5_dNS_4plusIdEEEEvT4_mT5_T6_T7_
; %bb.0:
	s_load_dwordx8 s[8:15], s[4:5], 0x0
	s_lshl_b32 s0, s6, 14
	s_mov_b32 s1, 0
	s_lshl_b64 s[4:5], s[0:1], 3
                                        ; implicit-def: $vgpr132 : SGPR spill to VGPR lane
	s_mov_b32 s7, s1
	s_waitcnt lgkmcnt(0)
	s_lshr_b64 s[2:3], s[10:11], 14
	s_add_u32 s1, s8, s4
	v_writelane_b32 v132, s8, 0
	v_writelane_b32 v132, s9, 1
	;; [unrolled: 1-line block ×5, first 2 shown]
	s_addc_u32 s4, s9, s5
	v_lshlrev_b32_e32 v1, 3, v0
	v_writelane_b32 v132, s13, 5
	v_mov_b32_e32 v3, s4
	v_add_co_u32_e32 v2, vcc, s1, v1
	v_writelane_b32 v132, s14, 6
	s_cmp_lg_u64 s[2:3], s[6:7]
	v_addc_co_u32_e32 v3, vcc, 0, v3, vcc
	v_mbcnt_lo_u32_b32 v1, -1, 0
	v_writelane_b32 v132, s15, 7
	s_cbranch_scc0 .LBB2_6
; %bb.1:
	v_add_co_u32_e32 v12, vcc, 0x1000, v2
	v_addc_co_u32_e32 v13, vcc, 0, v3, vcc
	global_load_dwordx2 v[4:5], v[2:3], off
	global_load_dwordx2 v[6:7], v[2:3], off offset:2048
	global_load_dwordx2 v[8:9], v[12:13], off
	global_load_dwordx2 v[10:11], v[12:13], off offset:2048
	v_add_co_u32_e32 v20, vcc, 0x2000, v2
	v_addc_co_u32_e32 v21, vcc, 0, v3, vcc
	v_add_co_u32_e32 v22, vcc, 0x3000, v2
	v_addc_co_u32_e32 v23, vcc, 0, v3, vcc
	global_load_dwordx2 v[12:13], v[20:21], off
	global_load_dwordx2 v[14:15], v[20:21], off offset:2048
	global_load_dwordx2 v[16:17], v[22:23], off
	global_load_dwordx2 v[18:19], v[22:23], off offset:2048
	v_add_co_u32_e32 v28, vcc, 0x4000, v2
	v_addc_co_u32_e32 v29, vcc, 0, v3, vcc
	v_add_co_u32_e32 v30, vcc, 0x5000, v2
	v_addc_co_u32_e32 v31, vcc, 0, v3, vcc
	global_load_dwordx2 v[20:21], v[28:29], off
	global_load_dwordx2 v[22:23], v[28:29], off offset:2048
	global_load_dwordx2 v[24:25], v[30:31], off
	global_load_dwordx2 v[26:27], v[30:31], off offset:2048
	v_add_co_u32_e32 v36, vcc, 0x6000, v2
	v_addc_co_u32_e32 v37, vcc, 0, v3, vcc
	v_add_co_u32_e32 v38, vcc, 0x7000, v2
	v_addc_co_u32_e32 v39, vcc, 0, v3, vcc
	global_load_dwordx2 v[28:29], v[36:37], off
	global_load_dwordx2 v[30:31], v[36:37], off offset:2048
	global_load_dwordx2 v[32:33], v[38:39], off
	global_load_dwordx2 v[34:35], v[38:39], off offset:2048
	v_add_co_u32_e32 v36, vcc, 0x8000, v2
	v_addc_co_u32_e32 v37, vcc, 0, v3, vcc
	v_add_co_u32_e32 v38, vcc, 0x9000, v2
	v_addc_co_u32_e32 v39, vcc, 0, v3, vcc
	global_load_dwordx2 v[40:41], v[36:37], off
	global_load_dwordx2 v[42:43], v[36:37], off offset:2048
	global_load_dwordx2 v[44:45], v[38:39], off
	global_load_dwordx2 v[46:47], v[38:39], off offset:2048
	v_add_co_u32_e32 v36, vcc, 0xa000, v2
	v_addc_co_u32_e32 v37, vcc, 0, v3, vcc
	v_add_co_u32_e32 v38, vcc, 0xb000, v2
	v_addc_co_u32_e32 v39, vcc, 0, v3, vcc
	global_load_dwordx2 v[48:49], v[36:37], off
	global_load_dwordx2 v[50:51], v[36:37], off offset:2048
	global_load_dwordx2 v[52:53], v[38:39], off
	global_load_dwordx2 v[54:55], v[38:39], off offset:2048
	v_add_co_u32_e32 v36, vcc, 0xc000, v2
	v_addc_co_u32_e32 v37, vcc, 0, v3, vcc
	v_add_co_u32_e32 v38, vcc, 0xd000, v2
	v_addc_co_u32_e32 v39, vcc, 0, v3, vcc
	global_load_dwordx2 v[56:57], v[36:37], off
	global_load_dwordx2 v[58:59], v[36:37], off offset:2048
	global_load_dwordx2 v[60:61], v[38:39], off
	global_load_dwordx2 v[62:63], v[38:39], off offset:2048
	v_add_co_u32_e32 v36, vcc, 0xe000, v2
	v_addc_co_u32_e32 v37, vcc, 0, v3, vcc
	v_add_co_u32_e32 v38, vcc, 0xf000, v2
	v_addc_co_u32_e32 v39, vcc, 0, v3, vcc
	global_load_dwordx2 v[64:65], v[36:37], off
	global_load_dwordx2 v[66:67], v[36:37], off offset:2048
	global_load_dwordx2 v[68:69], v[38:39], off
	global_load_dwordx2 v[70:71], v[38:39], off offset:2048
	v_add_co_u32_e32 v36, vcc, 0x10000, v2
	v_addc_co_u32_e32 v37, vcc, 0, v3, vcc
	v_add_co_u32_e32 v38, vcc, 0x11000, v2
	v_addc_co_u32_e32 v39, vcc, 0, v3, vcc
	global_load_dwordx2 v[72:73], v[36:37], off
	global_load_dwordx2 v[74:75], v[36:37], off offset:2048
	global_load_dwordx2 v[76:77], v[38:39], off
	global_load_dwordx2 v[78:79], v[38:39], off offset:2048
	v_add_co_u32_e32 v36, vcc, 0x12000, v2
	v_addc_co_u32_e32 v37, vcc, 0, v3, vcc
	v_add_co_u32_e32 v38, vcc, 0x13000, v2
	v_addc_co_u32_e32 v39, vcc, 0, v3, vcc
	global_load_dwordx2 v[80:81], v[36:37], off
	global_load_dwordx2 v[82:83], v[36:37], off offset:2048
	global_load_dwordx2 v[84:85], v[38:39], off
	global_load_dwordx2 v[86:87], v[38:39], off offset:2048
	v_add_co_u32_e32 v36, vcc, 0x14000, v2
	v_addc_co_u32_e32 v37, vcc, 0, v3, vcc
	v_add_co_u32_e32 v38, vcc, 0x15000, v2
	v_addc_co_u32_e32 v39, vcc, 0, v3, vcc
	global_load_dwordx2 v[88:89], v[36:37], off
	global_load_dwordx2 v[90:91], v[36:37], off offset:2048
	global_load_dwordx2 v[92:93], v[38:39], off
	global_load_dwordx2 v[94:95], v[38:39], off offset:2048
	v_add_co_u32_e32 v36, vcc, 0x16000, v2
	v_addc_co_u32_e32 v37, vcc, 0, v3, vcc
	v_add_co_u32_e32 v38, vcc, 0x17000, v2
	v_addc_co_u32_e32 v39, vcc, 0, v3, vcc
	global_load_dwordx2 v[96:97], v[36:37], off
	global_load_dwordx2 v[98:99], v[36:37], off offset:2048
	global_load_dwordx2 v[100:101], v[38:39], off
	global_load_dwordx2 v[102:103], v[38:39], off offset:2048
	v_add_co_u32_e32 v36, vcc, 0x18000, v2
	v_addc_co_u32_e32 v37, vcc, 0, v3, vcc
	v_add_co_u32_e32 v38, vcc, 0x19000, v2
	v_addc_co_u32_e32 v39, vcc, 0, v3, vcc
	global_load_dwordx2 v[104:105], v[36:37], off
	global_load_dwordx2 v[106:107], v[36:37], off offset:2048
	global_load_dwordx2 v[108:109], v[38:39], off
	global_load_dwordx2 v[110:111], v[38:39], off offset:2048
	v_add_co_u32_e32 v36, vcc, 0x1a000, v2
	v_addc_co_u32_e32 v37, vcc, 0, v3, vcc
	v_add_co_u32_e32 v38, vcc, 0x1b000, v2
	v_addc_co_u32_e32 v39, vcc, 0, v3, vcc
	global_load_dwordx2 v[112:113], v[36:37], off
	global_load_dwordx2 v[114:115], v[36:37], off offset:2048
	global_load_dwordx2 v[116:117], v[38:39], off
	global_load_dwordx2 v[118:119], v[38:39], off offset:2048
	v_add_co_u32_e32 v36, vcc, 0x1c000, v2
	v_addc_co_u32_e32 v37, vcc, 0, v3, vcc
	v_add_co_u32_e32 v38, vcc, 0x1d000, v2
	v_addc_co_u32_e32 v39, vcc, 0, v3, vcc
	global_load_dwordx2 v[120:121], v[36:37], off
	global_load_dwordx2 v[122:123], v[36:37], off offset:2048
	global_load_dwordx2 v[124:125], v[38:39], off
	global_load_dwordx2 v[126:127], v[38:39], off offset:2048
	v_add_co_u32_e32 v36, vcc, 0x1e000, v2
	v_addc_co_u32_e32 v37, vcc, 0, v3, vcc
	v_add_co_u32_e32 v38, vcc, 0x1f000, v2
	v_addc_co_u32_e32 v39, vcc, 0, v3, vcc
	global_load_dwordx2 v[128:129], v[36:37], off
	s_nop 0
	global_load_dwordx2 v[36:37], v[36:37], off offset:2048
	s_nop 0
	global_load_dwordx2 v[130:131], v[38:39], off
	s_nop 0
	global_load_dwordx2 v[38:39], v[38:39], off offset:2048
	s_waitcnt vmcnt(62)
	v_add_f64 v[4:5], v[4:5], v[6:7]
	s_waitcnt vmcnt(61)
	v_add_f64 v[4:5], v[4:5], v[8:9]
	;; [unrolled: 2-line block ×47, first 2 shown]
	v_mbcnt_hi_u32_b32 v6, -1, v1
	v_bfrev_b32_e32 v7, 0.5
	s_waitcnt vmcnt(15)
	v_add_f64 v[4:5], v[4:5], v[104:105]
	s_waitcnt vmcnt(14)
	v_add_f64 v[4:5], v[4:5], v[106:107]
	;; [unrolled: 2-line block ×4, first 2 shown]
	v_lshl_or_b32 v7, v6, 2, v7
	v_cmp_eq_u32_e32 vcc, 0, v6
	s_waitcnt vmcnt(11)
	v_add_f64 v[4:5], v[4:5], v[112:113]
	s_waitcnt vmcnt(10)
	v_add_f64 v[4:5], v[4:5], v[114:115]
	;; [unrolled: 2-line block ×12, first 2 shown]
	s_nop 1
	v_mov_b32_dpp v8, v4 quad_perm:[1,0,3,2] row_mask:0xf bank_mask:0xf
	v_mov_b32_dpp v9, v5 quad_perm:[1,0,3,2] row_mask:0xf bank_mask:0xf
	v_add_f64 v[4:5], v[4:5], v[8:9]
	s_nop 1
	v_mov_b32_dpp v8, v4 quad_perm:[2,3,0,1] row_mask:0xf bank_mask:0xf
	v_mov_b32_dpp v9, v5 quad_perm:[2,3,0,1] row_mask:0xf bank_mask:0xf
	v_add_f64 v[4:5], v[4:5], v[8:9]
	s_nop 1
	v_mov_b32_dpp v8, v4 row_ror:4 row_mask:0xf bank_mask:0xf
	v_mov_b32_dpp v9, v5 row_ror:4 row_mask:0xf bank_mask:0xf
	v_add_f64 v[4:5], v[4:5], v[8:9]
	s_nop 1
	v_mov_b32_dpp v8, v4 row_ror:8 row_mask:0xf bank_mask:0xf
	v_mov_b32_dpp v9, v5 row_ror:8 row_mask:0xf bank_mask:0xf
	v_add_f64 v[4:5], v[4:5], v[8:9]
	s_nop 1
	v_mov_b32_dpp v8, v4 row_bcast:15 row_mask:0xf bank_mask:0xf
	v_mov_b32_dpp v9, v5 row_bcast:15 row_mask:0xf bank_mask:0xf
	v_add_f64 v[4:5], v[4:5], v[8:9]
	s_nop 1
	v_mov_b32_dpp v8, v4 row_bcast:31 row_mask:0xf bank_mask:0xf
	v_mov_b32_dpp v9, v5 row_bcast:31 row_mask:0xf bank_mask:0xf
	v_add_f64 v[4:5], v[4:5], v[8:9]
	ds_bpermute_b32 v4, v7, v4
	ds_bpermute_b32 v5, v7, v5
	s_and_saveexec_b64 s[2:3], vcc
	s_cbranch_execz .LBB2_3
; %bb.2:
	v_lshrrev_b32_e32 v7, 3, v0
	v_and_b32_e32 v7, 24, v7
	s_waitcnt lgkmcnt(0)
	ds_write_b64 v7, v[4:5]
.LBB2_3:
	s_or_b64 exec, exec, s[2:3]
	v_cmp_gt_u32_e32 vcc, 64, v0
	s_waitcnt lgkmcnt(0)
	s_barrier
	s_and_saveexec_b64 s[2:3], vcc
	s_cbranch_execz .LBB2_5
; %bb.4:
	v_and_b32_e32 v7, 3, v6
	v_lshlrev_b32_e32 v4, 3, v7
	ds_read_b64 v[4:5], v4
	v_cmp_ne_u32_e32 vcc, 3, v7
	v_addc_co_u32_e32 v8, vcc, 0, v6, vcc
	v_lshlrev_b32_e32 v9, 2, v8
	s_waitcnt lgkmcnt(0)
	ds_bpermute_b32 v8, v9, v4
	ds_bpermute_b32 v9, v9, v5
	v_cmp_gt_u32_e32 vcc, 2, v7
	v_cndmask_b32_e64 v7, 0, 1, vcc
	v_lshlrev_b32_e32 v7, 1, v7
	v_add_lshl_u32 v7, v7, v6, 2
	s_waitcnt lgkmcnt(0)
	v_add_f64 v[4:5], v[4:5], v[8:9]
	ds_bpermute_b32 v6, v7, v4
	ds_bpermute_b32 v7, v7, v5
	s_waitcnt lgkmcnt(0)
	v_add_f64 v[4:5], v[4:5], v[6:7]
.LBB2_5:
	s_or_b64 exec, exec, s[2:3]
	s_branch .LBB2_142
.LBB2_6:
                                        ; implicit-def: $vgpr4_vgpr5
	s_cbranch_execz .LBB2_142
; %bb.7:
	v_readlane_b32 s8, v132, 0
	v_readlane_b32 s10, v132, 2
	s_sub_i32 s33, s10, s0
	v_cmp_gt_u32_e32 vcc, s33, v0
	v_readlane_b32 s9, v132, 1
	v_readlane_b32 s11, v132, 3
	;; [unrolled: 1-line block ×6, first 2 shown]
                                        ; implicit-def: $vgpr4_vgpr5
	s_and_saveexec_b64 s[0:1], vcc
	s_cbranch_execz .LBB2_9
; %bb.8:
	global_load_dwordx2 v[4:5], v[2:3], off
.LBB2_9:
	s_or_b64 exec, exec, s[0:1]
	v_or_b32_e32 v6, 0x100, v0
	v_cmp_gt_u32_e64 s[2:3], s33, v6
                                        ; implicit-def: $vgpr6_vgpr7
	s_mov_b64 s[0:1], exec
	v_writelane_b32 v132, s2, 8
	v_writelane_b32 v132, s3, 9
	s_and_b64 s[2:3], s[0:1], s[2:3]
	s_mov_b64 exec, s[2:3]
	s_cbranch_execz .LBB2_11
; %bb.10:
	global_load_dwordx2 v[6:7], v[2:3], off offset:2048
.LBB2_11:
	s_or_b64 exec, exec, s[0:1]
	v_or_b32_e32 v8, 0x200, v0
	v_cmp_gt_u32_e64 s[2:3], s33, v8
                                        ; implicit-def: $vgpr8_vgpr9
	s_mov_b64 s[0:1], exec
	v_writelane_b32 v132, s2, 10
	v_writelane_b32 v132, s3, 11
	s_and_b64 s[2:3], s[0:1], s[2:3]
	s_mov_b64 exec, s[2:3]
	s_cbranch_execz .LBB2_13
; %bb.12:
	v_add_co_u32_e32 v8, vcc, 0x1000, v2
	v_addc_co_u32_e32 v9, vcc, 0, v3, vcc
	global_load_dwordx2 v[8:9], v[8:9], off
.LBB2_13:
	s_or_b64 exec, exec, s[0:1]
	v_or_b32_e32 v10, 0x300, v0
	v_cmp_gt_u32_e64 s[2:3], s33, v10
                                        ; implicit-def: $vgpr10_vgpr11
	s_mov_b64 s[0:1], exec
	v_writelane_b32 v132, s2, 12
	v_writelane_b32 v132, s3, 13
	s_and_b64 s[2:3], s[0:1], s[2:3]
	s_mov_b64 exec, s[2:3]
	s_cbranch_execz .LBB2_15
; %bb.14:
	v_add_co_u32_e32 v10, vcc, 0x1000, v2
	v_addc_co_u32_e32 v11, vcc, 0, v3, vcc
	global_load_dwordx2 v[10:11], v[10:11], off offset:2048
.LBB2_15:
	s_or_b64 exec, exec, s[0:1]
	v_or_b32_e32 v12, 0x400, v0
	v_cmp_gt_u32_e64 s[2:3], s33, v12
                                        ; implicit-def: $vgpr12_vgpr13
	s_mov_b64 s[0:1], exec
	v_writelane_b32 v132, s2, 14
	v_writelane_b32 v132, s3, 15
	s_and_b64 s[2:3], s[0:1], s[2:3]
	s_mov_b64 exec, s[2:3]
	s_cbranch_execz .LBB2_17
; %bb.16:
	v_add_co_u32_e32 v12, vcc, 0x2000, v2
	v_addc_co_u32_e32 v13, vcc, 0, v3, vcc
	global_load_dwordx2 v[12:13], v[12:13], off
.LBB2_17:
	s_or_b64 exec, exec, s[0:1]
	v_or_b32_e32 v14, 0x500, v0
	v_cmp_gt_u32_e64 s[2:3], s33, v14
                                        ; implicit-def: $vgpr14_vgpr15
	s_mov_b64 s[0:1], exec
	v_writelane_b32 v132, s2, 16
	v_writelane_b32 v132, s3, 17
	s_and_b64 s[2:3], s[0:1], s[2:3]
	s_mov_b64 exec, s[2:3]
	s_cbranch_execz .LBB2_19
; %bb.18:
	v_add_co_u32_e32 v14, vcc, 0x2000, v2
	v_addc_co_u32_e32 v15, vcc, 0, v3, vcc
	global_load_dwordx2 v[14:15], v[14:15], off offset:2048
.LBB2_19:
	s_or_b64 exec, exec, s[0:1]
	v_or_b32_e32 v16, 0x600, v0
	v_cmp_gt_u32_e64 s[2:3], s33, v16
                                        ; implicit-def: $vgpr16_vgpr17
	s_mov_b64 s[0:1], exec
	v_writelane_b32 v132, s2, 18
	v_writelane_b32 v132, s3, 19
	s_and_b64 s[2:3], s[0:1], s[2:3]
	s_mov_b64 exec, s[2:3]
	s_cbranch_execz .LBB2_21
; %bb.20:
	v_add_co_u32_e32 v16, vcc, 0x3000, v2
	v_addc_co_u32_e32 v17, vcc, 0, v3, vcc
	global_load_dwordx2 v[16:17], v[16:17], off
.LBB2_21:
	s_or_b64 exec, exec, s[0:1]
	v_or_b32_e32 v18, 0x700, v0
	v_cmp_gt_u32_e64 s[2:3], s33, v18
                                        ; implicit-def: $vgpr18_vgpr19
	s_mov_b64 s[0:1], exec
	v_writelane_b32 v132, s2, 20
	v_writelane_b32 v132, s3, 21
	s_and_b64 s[2:3], s[0:1], s[2:3]
	s_mov_b64 exec, s[2:3]
	s_cbranch_execz .LBB2_23
; %bb.22:
	v_add_co_u32_e32 v18, vcc, 0x3000, v2
	v_addc_co_u32_e32 v19, vcc, 0, v3, vcc
	global_load_dwordx2 v[18:19], v[18:19], off offset:2048
.LBB2_23:
	s_or_b64 exec, exec, s[0:1]
	v_or_b32_e32 v20, 0x800, v0
	v_cmp_gt_u32_e64 s[2:3], s33, v20
                                        ; implicit-def: $vgpr20_vgpr21
	s_mov_b64 s[0:1], exec
	v_writelane_b32 v132, s2, 22
	v_writelane_b32 v132, s3, 23
	s_and_b64 s[2:3], s[0:1], s[2:3]
	s_mov_b64 exec, s[2:3]
	s_cbranch_execz .LBB2_25
; %bb.24:
	v_add_co_u32_e32 v20, vcc, 0x4000, v2
	v_addc_co_u32_e32 v21, vcc, 0, v3, vcc
	global_load_dwordx2 v[20:21], v[20:21], off
.LBB2_25:
	s_or_b64 exec, exec, s[0:1]
	v_or_b32_e32 v22, 0x900, v0
	v_cmp_gt_u32_e64 s[2:3], s33, v22
                                        ; implicit-def: $vgpr22_vgpr23
	s_mov_b64 s[0:1], exec
	v_writelane_b32 v132, s2, 24
	v_writelane_b32 v132, s3, 25
	s_and_b64 s[2:3], s[0:1], s[2:3]
	s_mov_b64 exec, s[2:3]
	s_cbranch_execz .LBB2_27
; %bb.26:
	v_add_co_u32_e32 v22, vcc, 0x4000, v2
	v_addc_co_u32_e32 v23, vcc, 0, v3, vcc
	global_load_dwordx2 v[22:23], v[22:23], off offset:2048
.LBB2_27:
	s_or_b64 exec, exec, s[0:1]
	v_or_b32_e32 v24, 0xa00, v0
	v_cmp_gt_u32_e64 s[2:3], s33, v24
                                        ; implicit-def: $vgpr24_vgpr25
	s_mov_b64 s[0:1], exec
	v_writelane_b32 v132, s2, 26
	v_writelane_b32 v132, s3, 27
	s_and_b64 s[2:3], s[0:1], s[2:3]
	s_mov_b64 exec, s[2:3]
	s_cbranch_execz .LBB2_29
; %bb.28:
	v_add_co_u32_e32 v24, vcc, 0x5000, v2
	v_addc_co_u32_e32 v25, vcc, 0, v3, vcc
	global_load_dwordx2 v[24:25], v[24:25], off
.LBB2_29:
	s_or_b64 exec, exec, s[0:1]
	v_or_b32_e32 v26, 0xb00, v0
	v_cmp_gt_u32_e64 s[2:3], s33, v26
                                        ; implicit-def: $vgpr26_vgpr27
	s_mov_b64 s[0:1], exec
	v_writelane_b32 v132, s2, 28
	v_writelane_b32 v132, s3, 29
	s_and_b64 s[2:3], s[0:1], s[2:3]
	s_mov_b64 exec, s[2:3]
	s_cbranch_execz .LBB2_31
; %bb.30:
	v_add_co_u32_e32 v26, vcc, 0x5000, v2
	v_addc_co_u32_e32 v27, vcc, 0, v3, vcc
	global_load_dwordx2 v[26:27], v[26:27], off offset:2048
.LBB2_31:
	s_or_b64 exec, exec, s[0:1]
	v_or_b32_e32 v28, 0xc00, v0
	v_cmp_gt_u32_e64 s[2:3], s33, v28
                                        ; implicit-def: $vgpr28_vgpr29
	s_mov_b64 s[0:1], exec
	v_writelane_b32 v132, s2, 30
	v_writelane_b32 v132, s3, 31
	s_and_b64 s[2:3], s[0:1], s[2:3]
	s_mov_b64 exec, s[2:3]
	s_cbranch_execz .LBB2_33
; %bb.32:
	v_add_co_u32_e32 v28, vcc, 0x6000, v2
	v_addc_co_u32_e32 v29, vcc, 0, v3, vcc
	global_load_dwordx2 v[28:29], v[28:29], off
.LBB2_33:
	s_or_b64 exec, exec, s[0:1]
	v_or_b32_e32 v30, 0xd00, v0
	v_cmp_gt_u32_e64 s[2:3], s33, v30
                                        ; implicit-def: $vgpr30_vgpr31
	s_mov_b64 s[0:1], exec
	v_writelane_b32 v132, s2, 32
	v_writelane_b32 v132, s3, 33
	s_and_b64 s[2:3], s[0:1], s[2:3]
	s_mov_b64 exec, s[2:3]
	s_cbranch_execz .LBB2_35
; %bb.34:
	v_add_co_u32_e32 v30, vcc, 0x6000, v2
	v_addc_co_u32_e32 v31, vcc, 0, v3, vcc
	global_load_dwordx2 v[30:31], v[30:31], off offset:2048
.LBB2_35:
	s_or_b64 exec, exec, s[0:1]
	v_or_b32_e32 v32, 0xe00, v0
	v_cmp_gt_u32_e64 s[2:3], s33, v32
                                        ; implicit-def: $vgpr32_vgpr33
	s_mov_b64 s[0:1], exec
	v_writelane_b32 v132, s2, 34
	v_writelane_b32 v132, s3, 35
	s_and_b64 s[2:3], s[0:1], s[2:3]
	s_mov_b64 exec, s[2:3]
	s_cbranch_execz .LBB2_37
; %bb.36:
	v_add_co_u32_e32 v32, vcc, 0x7000, v2
	v_addc_co_u32_e32 v33, vcc, 0, v3, vcc
	global_load_dwordx2 v[32:33], v[32:33], off
.LBB2_37:
	s_or_b64 exec, exec, s[0:1]
	v_or_b32_e32 v34, 0xf00, v0
	v_cmp_gt_u32_e64 s[2:3], s33, v34
                                        ; implicit-def: $vgpr34_vgpr35
	s_mov_b64 s[0:1], exec
	v_writelane_b32 v132, s2, 36
	v_writelane_b32 v132, s3, 37
	s_and_b64 s[2:3], s[0:1], s[2:3]
	s_mov_b64 exec, s[2:3]
	s_cbranch_execz .LBB2_39
; %bb.38:
	v_add_co_u32_e32 v34, vcc, 0x7000, v2
	v_addc_co_u32_e32 v35, vcc, 0, v3, vcc
	global_load_dwordx2 v[34:35], v[34:35], off offset:2048
.LBB2_39:
	s_or_b64 exec, exec, s[0:1]
	v_or_b32_e32 v36, 0x1000, v0
	v_cmp_gt_u32_e64 s[2:3], s33, v36
                                        ; implicit-def: $vgpr36_vgpr37
	s_mov_b64 s[0:1], exec
	v_writelane_b32 v132, s2, 38
	v_writelane_b32 v132, s3, 39
	s_and_b64 s[2:3], s[0:1], s[2:3]
	s_mov_b64 exec, s[2:3]
	s_cbranch_execz .LBB2_41
; %bb.40:
	v_add_co_u32_e32 v36, vcc, 0x8000, v2
	v_addc_co_u32_e32 v37, vcc, 0, v3, vcc
	global_load_dwordx2 v[36:37], v[36:37], off
.LBB2_41:
	s_or_b64 exec, exec, s[0:1]
	v_or_b32_e32 v38, 0x1100, v0
	v_cmp_gt_u32_e64 s[2:3], s33, v38
                                        ; implicit-def: $vgpr38_vgpr39
	s_mov_b64 s[0:1], exec
	v_writelane_b32 v132, s2, 40
	v_writelane_b32 v132, s3, 41
	s_and_b64 s[2:3], s[0:1], s[2:3]
	s_mov_b64 exec, s[2:3]
	s_cbranch_execz .LBB2_43
; %bb.42:
	v_add_co_u32_e32 v38, vcc, 0x8000, v2
	v_addc_co_u32_e32 v39, vcc, 0, v3, vcc
	global_load_dwordx2 v[38:39], v[38:39], off offset:2048
.LBB2_43:
	s_or_b64 exec, exec, s[0:1]
	v_or_b32_e32 v40, 0x1200, v0
	v_cmp_gt_u32_e64 s[2:3], s33, v40
                                        ; implicit-def: $vgpr40_vgpr41
	s_mov_b64 s[0:1], exec
	v_writelane_b32 v132, s2, 42
	v_writelane_b32 v132, s3, 43
	s_and_b64 s[2:3], s[0:1], s[2:3]
	s_mov_b64 exec, s[2:3]
	s_cbranch_execz .LBB2_45
; %bb.44:
	v_add_co_u32_e32 v40, vcc, 0x9000, v2
	v_addc_co_u32_e32 v41, vcc, 0, v3, vcc
	global_load_dwordx2 v[40:41], v[40:41], off
.LBB2_45:
	s_or_b64 exec, exec, s[0:1]
	v_or_b32_e32 v42, 0x1300, v0
	v_cmp_gt_u32_e64 s[40:41], s33, v42
                                        ; implicit-def: $vgpr42_vgpr43
	s_and_saveexec_b64 s[0:1], s[40:41]
	s_cbranch_execz .LBB2_47
; %bb.46:
	v_add_co_u32_e32 v42, vcc, 0x9000, v2
	v_addc_co_u32_e32 v43, vcc, 0, v3, vcc
	global_load_dwordx2 v[42:43], v[42:43], off offset:2048
.LBB2_47:
	s_or_b64 exec, exec, s[0:1]
	v_or_b32_e32 v44, 0x1400, v0
	v_cmp_gt_u32_e64 s[42:43], s33, v44
                                        ; implicit-def: $vgpr44_vgpr45
	s_and_saveexec_b64 s[0:1], s[42:43]
	s_cbranch_execz .LBB2_49
; %bb.48:
	v_add_co_u32_e32 v44, vcc, 0xa000, v2
	v_addc_co_u32_e32 v45, vcc, 0, v3, vcc
	global_load_dwordx2 v[44:45], v[44:45], off
.LBB2_49:
	s_or_b64 exec, exec, s[0:1]
	v_or_b32_e32 v46, 0x1500, v0
	v_cmp_gt_u32_e64 s[44:45], s33, v46
                                        ; implicit-def: $vgpr46_vgpr47
	s_and_saveexec_b64 s[0:1], s[44:45]
	s_cbranch_execz .LBB2_51
; %bb.50:
	v_add_co_u32_e32 v46, vcc, 0xa000, v2
	v_addc_co_u32_e32 v47, vcc, 0, v3, vcc
	global_load_dwordx2 v[46:47], v[46:47], off offset:2048
.LBB2_51:
	s_or_b64 exec, exec, s[0:1]
	v_or_b32_e32 v48, 0x1600, v0
	v_cmp_gt_u32_e64 s[46:47], s33, v48
                                        ; implicit-def: $vgpr48_vgpr49
	s_and_saveexec_b64 s[0:1], s[46:47]
	s_cbranch_execz .LBB2_53
; %bb.52:
	v_add_co_u32_e32 v48, vcc, 0xb000, v2
	v_addc_co_u32_e32 v49, vcc, 0, v3, vcc
	global_load_dwordx2 v[48:49], v[48:49], off
.LBB2_53:
	s_or_b64 exec, exec, s[0:1]
	v_or_b32_e32 v50, 0x1700, v0
	v_cmp_gt_u32_e64 s[48:49], s33, v50
                                        ; implicit-def: $vgpr50_vgpr51
	s_and_saveexec_b64 s[0:1], s[48:49]
	s_cbranch_execz .LBB2_55
; %bb.54:
	v_add_co_u32_e32 v50, vcc, 0xb000, v2
	v_addc_co_u32_e32 v51, vcc, 0, v3, vcc
	global_load_dwordx2 v[50:51], v[50:51], off offset:2048
.LBB2_55:
	s_or_b64 exec, exec, s[0:1]
	v_or_b32_e32 v52, 0x1800, v0
	v_cmp_gt_u32_e64 s[50:51], s33, v52
                                        ; implicit-def: $vgpr52_vgpr53
	s_and_saveexec_b64 s[0:1], s[50:51]
	s_cbranch_execz .LBB2_57
; %bb.56:
	v_add_co_u32_e32 v52, vcc, 0xc000, v2
	v_addc_co_u32_e32 v53, vcc, 0, v3, vcc
	global_load_dwordx2 v[52:53], v[52:53], off
.LBB2_57:
	s_or_b64 exec, exec, s[0:1]
	v_or_b32_e32 v54, 0x1900, v0
	v_cmp_gt_u32_e64 s[52:53], s33, v54
                                        ; implicit-def: $vgpr54_vgpr55
	s_and_saveexec_b64 s[0:1], s[52:53]
	s_cbranch_execz .LBB2_59
; %bb.58:
	v_add_co_u32_e32 v54, vcc, 0xc000, v2
	v_addc_co_u32_e32 v55, vcc, 0, v3, vcc
	global_load_dwordx2 v[54:55], v[54:55], off offset:2048
.LBB2_59:
	s_or_b64 exec, exec, s[0:1]
	v_or_b32_e32 v56, 0x1a00, v0
	v_cmp_gt_u32_e64 s[54:55], s33, v56
                                        ; implicit-def: $vgpr56_vgpr57
	s_and_saveexec_b64 s[0:1], s[54:55]
	s_cbranch_execz .LBB2_61
; %bb.60:
	v_add_co_u32_e32 v56, vcc, 0xd000, v2
	v_addc_co_u32_e32 v57, vcc, 0, v3, vcc
	global_load_dwordx2 v[56:57], v[56:57], off
.LBB2_61:
	s_or_b64 exec, exec, s[0:1]
	v_or_b32_e32 v58, 0x1b00, v0
	v_cmp_gt_u32_e64 s[56:57], s33, v58
                                        ; implicit-def: $vgpr58_vgpr59
	s_and_saveexec_b64 s[0:1], s[56:57]
	s_cbranch_execz .LBB2_63
; %bb.62:
	v_add_co_u32_e32 v58, vcc, 0xd000, v2
	v_addc_co_u32_e32 v59, vcc, 0, v3, vcc
	global_load_dwordx2 v[58:59], v[58:59], off offset:2048
.LBB2_63:
	s_or_b64 exec, exec, s[0:1]
	v_or_b32_e32 v60, 0x1c00, v0
	v_cmp_gt_u32_e64 s[58:59], s33, v60
                                        ; implicit-def: $vgpr60_vgpr61
	s_and_saveexec_b64 s[0:1], s[58:59]
	s_cbranch_execz .LBB2_65
; %bb.64:
	v_add_co_u32_e32 v60, vcc, 0xe000, v2
	v_addc_co_u32_e32 v61, vcc, 0, v3, vcc
	global_load_dwordx2 v[60:61], v[60:61], off
.LBB2_65:
	s_or_b64 exec, exec, s[0:1]
	v_or_b32_e32 v62, 0x1d00, v0
	v_cmp_gt_u32_e64 s[60:61], s33, v62
                                        ; implicit-def: $vgpr62_vgpr63
	s_and_saveexec_b64 s[0:1], s[60:61]
	s_cbranch_execz .LBB2_67
; %bb.66:
	v_add_co_u32_e32 v62, vcc, 0xe000, v2
	v_addc_co_u32_e32 v63, vcc, 0, v3, vcc
	global_load_dwordx2 v[62:63], v[62:63], off offset:2048
.LBB2_67:
	s_or_b64 exec, exec, s[0:1]
	v_or_b32_e32 v64, 0x1e00, v0
	v_cmp_gt_u32_e64 s[62:63], s33, v64
                                        ; implicit-def: $vgpr64_vgpr65
	s_and_saveexec_b64 s[0:1], s[62:63]
	s_cbranch_execz .LBB2_69
; %bb.68:
	v_add_co_u32_e32 v64, vcc, 0xf000, v2
	v_addc_co_u32_e32 v65, vcc, 0, v3, vcc
	global_load_dwordx2 v[64:65], v[64:65], off
.LBB2_69:
	s_or_b64 exec, exec, s[0:1]
	v_or_b32_e32 v66, 0x1f00, v0
	v_cmp_gt_u32_e64 s[64:65], s33, v66
                                        ; implicit-def: $vgpr66_vgpr67
	s_and_saveexec_b64 s[0:1], s[64:65]
	s_cbranch_execz .LBB2_71
; %bb.70:
	v_add_co_u32_e32 v66, vcc, 0xf000, v2
	v_addc_co_u32_e32 v67, vcc, 0, v3, vcc
	global_load_dwordx2 v[66:67], v[66:67], off offset:2048
.LBB2_71:
	s_or_b64 exec, exec, s[0:1]
	v_or_b32_e32 v68, 0x2000, v0
	v_cmp_gt_u32_e64 s[66:67], s33, v68
                                        ; implicit-def: $vgpr68_vgpr69
	s_and_saveexec_b64 s[0:1], s[66:67]
	s_cbranch_execz .LBB2_73
; %bb.72:
	v_add_co_u32_e32 v68, vcc, 0x10000, v2
	v_addc_co_u32_e32 v69, vcc, 0, v3, vcc
	global_load_dwordx2 v[68:69], v[68:69], off
.LBB2_73:
	s_or_b64 exec, exec, s[0:1]
	v_or_b32_e32 v70, 0x2100, v0
	v_cmp_gt_u32_e64 s[68:69], s33, v70
                                        ; implicit-def: $vgpr70_vgpr71
	s_and_saveexec_b64 s[0:1], s[68:69]
	s_cbranch_execz .LBB2_75
; %bb.74:
	v_add_co_u32_e32 v70, vcc, 0x10000, v2
	v_addc_co_u32_e32 v71, vcc, 0, v3, vcc
	global_load_dwordx2 v[70:71], v[70:71], off offset:2048
.LBB2_75:
	s_or_b64 exec, exec, s[0:1]
	v_or_b32_e32 v72, 0x2200, v0
	v_cmp_gt_u32_e64 s[70:71], s33, v72
                                        ; implicit-def: $vgpr72_vgpr73
	s_and_saveexec_b64 s[0:1], s[70:71]
	s_cbranch_execz .LBB2_77
; %bb.76:
	v_add_co_u32_e32 v72, vcc, 0x11000, v2
	v_addc_co_u32_e32 v73, vcc, 0, v3, vcc
	global_load_dwordx2 v[72:73], v[72:73], off
.LBB2_77:
	s_or_b64 exec, exec, s[0:1]
	v_or_b32_e32 v74, 0x2300, v0
	v_cmp_gt_u32_e64 s[72:73], s33, v74
                                        ; implicit-def: $vgpr74_vgpr75
	s_and_saveexec_b64 s[0:1], s[72:73]
	s_cbranch_execz .LBB2_79
; %bb.78:
	v_add_co_u32_e32 v74, vcc, 0x11000, v2
	v_addc_co_u32_e32 v75, vcc, 0, v3, vcc
	global_load_dwordx2 v[74:75], v[74:75], off offset:2048
.LBB2_79:
	s_or_b64 exec, exec, s[0:1]
	v_or_b32_e32 v76, 0x2400, v0
	v_cmp_gt_u32_e64 s[74:75], s33, v76
                                        ; implicit-def: $vgpr76_vgpr77
	s_and_saveexec_b64 s[0:1], s[74:75]
	s_cbranch_execz .LBB2_81
; %bb.80:
	v_add_co_u32_e32 v76, vcc, 0x12000, v2
	v_addc_co_u32_e32 v77, vcc, 0, v3, vcc
	global_load_dwordx2 v[76:77], v[76:77], off
.LBB2_81:
	s_or_b64 exec, exec, s[0:1]
	v_or_b32_e32 v78, 0x2500, v0
	v_cmp_gt_u32_e64 s[76:77], s33, v78
                                        ; implicit-def: $vgpr78_vgpr79
	s_and_saveexec_b64 s[0:1], s[76:77]
	s_cbranch_execz .LBB2_83
; %bb.82:
	v_add_co_u32_e32 v78, vcc, 0x12000, v2
	v_addc_co_u32_e32 v79, vcc, 0, v3, vcc
	global_load_dwordx2 v[78:79], v[78:79], off offset:2048
.LBB2_83:
	s_or_b64 exec, exec, s[0:1]
	v_or_b32_e32 v80, 0x2600, v0
	v_cmp_gt_u32_e64 s[78:79], s33, v80
                                        ; implicit-def: $vgpr80_vgpr81
	s_and_saveexec_b64 s[0:1], s[78:79]
	s_cbranch_execz .LBB2_85
; %bb.84:
	v_add_co_u32_e32 v80, vcc, 0x13000, v2
	v_addc_co_u32_e32 v81, vcc, 0, v3, vcc
	global_load_dwordx2 v[80:81], v[80:81], off
.LBB2_85:
	s_or_b64 exec, exec, s[0:1]
	v_or_b32_e32 v82, 0x2700, v0
	v_cmp_gt_u32_e64 s[80:81], s33, v82
                                        ; implicit-def: $vgpr82_vgpr83
	s_and_saveexec_b64 s[0:1], s[80:81]
	s_cbranch_execz .LBB2_87
; %bb.86:
	v_add_co_u32_e32 v82, vcc, 0x13000, v2
	v_addc_co_u32_e32 v83, vcc, 0, v3, vcc
	global_load_dwordx2 v[82:83], v[82:83], off offset:2048
.LBB2_87:
	s_or_b64 exec, exec, s[0:1]
	v_or_b32_e32 v84, 0x2800, v0
	v_cmp_gt_u32_e64 s[82:83], s33, v84
                                        ; implicit-def: $vgpr84_vgpr85
	s_and_saveexec_b64 s[0:1], s[82:83]
	s_cbranch_execz .LBB2_89
; %bb.88:
	v_add_co_u32_e32 v84, vcc, 0x14000, v2
	v_addc_co_u32_e32 v85, vcc, 0, v3, vcc
	global_load_dwordx2 v[84:85], v[84:85], off
.LBB2_89:
	s_or_b64 exec, exec, s[0:1]
	v_or_b32_e32 v86, 0x2900, v0
	v_cmp_gt_u32_e64 s[84:85], s33, v86
                                        ; implicit-def: $vgpr86_vgpr87
	s_and_saveexec_b64 s[0:1], s[84:85]
	s_cbranch_execz .LBB2_91
; %bb.90:
	v_add_co_u32_e32 v86, vcc, 0x14000, v2
	v_addc_co_u32_e32 v87, vcc, 0, v3, vcc
	global_load_dwordx2 v[86:87], v[86:87], off offset:2048
.LBB2_91:
	s_or_b64 exec, exec, s[0:1]
	v_or_b32_e32 v88, 0x2a00, v0
	v_cmp_gt_u32_e64 s[86:87], s33, v88
                                        ; implicit-def: $vgpr88_vgpr89
	s_and_saveexec_b64 s[0:1], s[86:87]
	s_cbranch_execz .LBB2_93
; %bb.92:
	v_add_co_u32_e32 v88, vcc, 0x15000, v2
	v_addc_co_u32_e32 v89, vcc, 0, v3, vcc
	global_load_dwordx2 v[88:89], v[88:89], off
.LBB2_93:
	s_or_b64 exec, exec, s[0:1]
	v_or_b32_e32 v90, 0x2b00, v0
	v_cmp_gt_u32_e64 s[88:89], s33, v90
                                        ; implicit-def: $vgpr90_vgpr91
	s_and_saveexec_b64 s[0:1], s[88:89]
	s_cbranch_execz .LBB2_95
; %bb.94:
	v_add_co_u32_e32 v90, vcc, 0x15000, v2
	v_addc_co_u32_e32 v91, vcc, 0, v3, vcc
	global_load_dwordx2 v[90:91], v[90:91], off offset:2048
.LBB2_95:
	s_or_b64 exec, exec, s[0:1]
	v_or_b32_e32 v92, 0x2c00, v0
	v_cmp_gt_u32_e64 s[90:91], s33, v92
                                        ; implicit-def: $vgpr92_vgpr93
	s_and_saveexec_b64 s[0:1], s[90:91]
	s_cbranch_execz .LBB2_97
; %bb.96:
	v_add_co_u32_e32 v92, vcc, 0x16000, v2
	v_addc_co_u32_e32 v93, vcc, 0, v3, vcc
	global_load_dwordx2 v[92:93], v[92:93], off
.LBB2_97:
	s_or_b64 exec, exec, s[0:1]
	v_or_b32_e32 v94, 0x2d00, v0
	v_cmp_gt_u32_e64 s[92:93], s33, v94
                                        ; implicit-def: $vgpr94_vgpr95
	s_and_saveexec_b64 s[0:1], s[92:93]
	s_cbranch_execz .LBB2_99
; %bb.98:
	v_add_co_u32_e32 v94, vcc, 0x16000, v2
	v_addc_co_u32_e32 v95, vcc, 0, v3, vcc
	global_load_dwordx2 v[94:95], v[94:95], off offset:2048
.LBB2_99:
	s_or_b64 exec, exec, s[0:1]
	v_or_b32_e32 v96, 0x2e00, v0
	v_cmp_gt_u32_e64 s[94:95], s33, v96
                                        ; implicit-def: $vgpr96_vgpr97
	s_and_saveexec_b64 s[0:1], s[94:95]
	s_cbranch_execz .LBB2_101
; %bb.100:
	v_add_co_u32_e32 v96, vcc, 0x17000, v2
	v_addc_co_u32_e32 v97, vcc, 0, v3, vcc
	global_load_dwordx2 v[96:97], v[96:97], off
.LBB2_101:
	s_or_b64 exec, exec, s[0:1]
	v_or_b32_e32 v98, 0x2f00, v0
	v_cmp_gt_u32_e64 s[0:1], s33, v98
                                        ; implicit-def: $vgpr98_vgpr99
	s_and_saveexec_b64 s[2:3], s[0:1]
	s_cbranch_execz .LBB2_103
; %bb.102:
	v_add_co_u32_e32 v98, vcc, 0x17000, v2
	v_addc_co_u32_e32 v99, vcc, 0, v3, vcc
	global_load_dwordx2 v[98:99], v[98:99], off offset:2048
.LBB2_103:
	s_or_b64 exec, exec, s[2:3]
	v_or_b32_e32 v100, 0x3000, v0
	v_cmp_gt_u32_e64 s[2:3], s33, v100
                                        ; implicit-def: $vgpr100_vgpr101
	s_and_saveexec_b64 s[4:5], s[2:3]
	s_cbranch_execz .LBB2_105
; %bb.104:
	v_add_co_u32_e32 v100, vcc, 0x18000, v2
	v_addc_co_u32_e32 v101, vcc, 0, v3, vcc
	global_load_dwordx2 v[100:101], v[100:101], off
.LBB2_105:
	s_or_b64 exec, exec, s[4:5]
	v_or_b32_e32 v102, 0x3100, v0
	v_cmp_gt_u32_e64 s[4:5], s33, v102
                                        ; implicit-def: $vgpr102_vgpr103
	s_and_saveexec_b64 s[8:9], s[4:5]
	s_cbranch_execz .LBB2_107
; %bb.106:
	v_add_co_u32_e32 v102, vcc, 0x18000, v2
	v_addc_co_u32_e32 v103, vcc, 0, v3, vcc
	global_load_dwordx2 v[102:103], v[102:103], off offset:2048
.LBB2_107:
	s_or_b64 exec, exec, s[8:9]
	v_or_b32_e32 v104, 0x3200, v0
	v_cmp_gt_u32_e64 s[8:9], s33, v104
                                        ; implicit-def: $vgpr104_vgpr105
	s_and_saveexec_b64 s[10:11], s[8:9]
	s_cbranch_execz .LBB2_109
; %bb.108:
	v_add_co_u32_e32 v104, vcc, 0x19000, v2
	v_addc_co_u32_e32 v105, vcc, 0, v3, vcc
	global_load_dwordx2 v[104:105], v[104:105], off
.LBB2_109:
	s_or_b64 exec, exec, s[10:11]
	v_or_b32_e32 v106, 0x3300, v0
	v_cmp_gt_u32_e64 s[10:11], s33, v106
                                        ; implicit-def: $vgpr106_vgpr107
	s_and_saveexec_b64 s[12:13], s[10:11]
	s_cbranch_execz .LBB2_111
; %bb.110:
	v_add_co_u32_e32 v106, vcc, 0x19000, v2
	v_addc_co_u32_e32 v107, vcc, 0, v3, vcc
	global_load_dwordx2 v[106:107], v[106:107], off offset:2048
.LBB2_111:
	s_or_b64 exec, exec, s[12:13]
	v_or_b32_e32 v108, 0x3400, v0
	v_cmp_gt_u32_e64 s[12:13], s33, v108
                                        ; implicit-def: $vgpr108_vgpr109
	s_and_saveexec_b64 s[14:15], s[12:13]
	s_cbranch_execz .LBB2_113
; %bb.112:
	v_add_co_u32_e32 v108, vcc, 0x1a000, v2
	v_addc_co_u32_e32 v109, vcc, 0, v3, vcc
	global_load_dwordx2 v[108:109], v[108:109], off
.LBB2_113:
	s_or_b64 exec, exec, s[14:15]
	v_or_b32_e32 v110, 0x3500, v0
	v_cmp_gt_u32_e64 s[14:15], s33, v110
                                        ; implicit-def: $vgpr110_vgpr111
	s_and_saveexec_b64 s[16:17], s[14:15]
	s_cbranch_execz .LBB2_115
; %bb.114:
	v_add_co_u32_e32 v110, vcc, 0x1a000, v2
	v_addc_co_u32_e32 v111, vcc, 0, v3, vcc
	global_load_dwordx2 v[110:111], v[110:111], off offset:2048
.LBB2_115:
	s_or_b64 exec, exec, s[16:17]
	v_or_b32_e32 v112, 0x3600, v0
	v_cmp_gt_u32_e64 s[16:17], s33, v112
                                        ; implicit-def: $vgpr112_vgpr113
	s_and_saveexec_b64 s[18:19], s[16:17]
	s_cbranch_execz .LBB2_117
; %bb.116:
	v_add_co_u32_e32 v112, vcc, 0x1b000, v2
	v_addc_co_u32_e32 v113, vcc, 0, v3, vcc
	global_load_dwordx2 v[112:113], v[112:113], off
.LBB2_117:
	s_or_b64 exec, exec, s[18:19]
	v_or_b32_e32 v114, 0x3700, v0
	v_cmp_gt_u32_e64 s[18:19], s33, v114
                                        ; implicit-def: $vgpr114_vgpr115
	s_and_saveexec_b64 s[20:21], s[18:19]
	s_cbranch_execz .LBB2_119
; %bb.118:
	v_add_co_u32_e32 v114, vcc, 0x1b000, v2
	v_addc_co_u32_e32 v115, vcc, 0, v3, vcc
	global_load_dwordx2 v[114:115], v[114:115], off offset:2048
.LBB2_119:
	s_or_b64 exec, exec, s[20:21]
	v_or_b32_e32 v116, 0x3800, v0
	v_cmp_gt_u32_e64 s[20:21], s33, v116
                                        ; implicit-def: $vgpr116_vgpr117
	s_and_saveexec_b64 s[22:23], s[20:21]
	s_cbranch_execz .LBB2_121
; %bb.120:
	v_add_co_u32_e32 v116, vcc, 0x1c000, v2
	v_addc_co_u32_e32 v117, vcc, 0, v3, vcc
	global_load_dwordx2 v[116:117], v[116:117], off
.LBB2_121:
	s_or_b64 exec, exec, s[22:23]
	v_or_b32_e32 v118, 0x3900, v0
	v_cmp_gt_u32_e64 s[22:23], s33, v118
                                        ; implicit-def: $vgpr118_vgpr119
	s_and_saveexec_b64 s[24:25], s[22:23]
	s_cbranch_execz .LBB2_123
; %bb.122:
	v_add_co_u32_e32 v118, vcc, 0x1c000, v2
	v_addc_co_u32_e32 v119, vcc, 0, v3, vcc
	global_load_dwordx2 v[118:119], v[118:119], off offset:2048
.LBB2_123:
	s_or_b64 exec, exec, s[24:25]
	v_or_b32_e32 v120, 0x3a00, v0
	v_cmp_gt_u32_e64 s[24:25], s33, v120
                                        ; implicit-def: $vgpr120_vgpr121
	s_and_saveexec_b64 s[26:27], s[24:25]
	s_cbranch_execz .LBB2_125
; %bb.124:
	v_add_co_u32_e32 v120, vcc, 0x1d000, v2
	v_addc_co_u32_e32 v121, vcc, 0, v3, vcc
	global_load_dwordx2 v[120:121], v[120:121], off
.LBB2_125:
	s_or_b64 exec, exec, s[26:27]
	v_or_b32_e32 v122, 0x3b00, v0
	v_cmp_gt_u32_e64 s[26:27], s33, v122
                                        ; implicit-def: $vgpr122_vgpr123
	s_and_saveexec_b64 s[28:29], s[26:27]
	s_cbranch_execz .LBB2_127
; %bb.126:
	v_add_co_u32_e32 v122, vcc, 0x1d000, v2
	v_addc_co_u32_e32 v123, vcc, 0, v3, vcc
	global_load_dwordx2 v[122:123], v[122:123], off offset:2048
.LBB2_127:
	s_or_b64 exec, exec, s[28:29]
	v_or_b32_e32 v124, 0x3c00, v0
	v_cmp_gt_u32_e64 s[28:29], s33, v124
                                        ; implicit-def: $vgpr124_vgpr125
	s_and_saveexec_b64 s[30:31], s[28:29]
	s_cbranch_execz .LBB2_129
; %bb.128:
	v_add_co_u32_e32 v124, vcc, 0x1e000, v2
	v_addc_co_u32_e32 v125, vcc, 0, v3, vcc
	global_load_dwordx2 v[124:125], v[124:125], off
.LBB2_129:
	s_or_b64 exec, exec, s[30:31]
	v_or_b32_e32 v126, 0x3d00, v0
	v_cmp_gt_u32_e64 s[30:31], s33, v126
                                        ; implicit-def: $vgpr126_vgpr127
	s_and_saveexec_b64 s[34:35], s[30:31]
	s_cbranch_execz .LBB2_131
; %bb.130:
	v_add_co_u32_e32 v126, vcc, 0x1e000, v2
	v_addc_co_u32_e32 v127, vcc, 0, v3, vcc
	global_load_dwordx2 v[126:127], v[126:127], off offset:2048
.LBB2_131:
	s_or_b64 exec, exec, s[34:35]
	v_or_b32_e32 v128, 0x3e00, v0
	v_cmp_gt_u32_e64 s[34:35], s33, v128
                                        ; implicit-def: $vgpr128_vgpr129
	s_and_saveexec_b64 s[36:37], s[34:35]
	s_cbranch_execz .LBB2_133
; %bb.132:
	v_add_co_u32_e32 v128, vcc, 0x1f000, v2
	v_addc_co_u32_e32 v129, vcc, 0, v3, vcc
	global_load_dwordx2 v[128:129], v[128:129], off
.LBB2_133:
	s_or_b64 exec, exec, s[36:37]
	v_or_b32_e32 v130, 0x3f00, v0
	v_cmp_gt_u32_e64 s[36:37], s33, v130
                                        ; implicit-def: $vgpr130_vgpr131
	s_and_saveexec_b64 s[38:39], s[36:37]
	s_cbranch_execz .LBB2_135
; %bb.134:
	v_add_co_u32_e32 v2, vcc, 0x1f000, v2
	v_addc_co_u32_e32 v3, vcc, 0, v3, vcc
	global_load_dwordx2 v[130:131], v[2:3], off offset:2048
.LBB2_135:
	s_or_b64 exec, exec, s[38:39]
	v_readlane_b32 s38, v132, 8
	s_waitcnt vmcnt(0)
	v_add_f64 v[2:3], v[4:5], v[6:7]
	v_readlane_b32 s39, v132, 9
	v_cndmask_b32_e64 v3, v5, v3, s[38:39]
	v_cndmask_b32_e64 v2, v4, v2, s[38:39]
	v_readlane_b32 s38, v132, 10
	v_add_f64 v[4:5], v[2:3], v[8:9]
	v_readlane_b32 s39, v132, 11
	v_cndmask_b32_e64 v3, v3, v5, s[38:39]
	v_cndmask_b32_e64 v2, v2, v4, s[38:39]
	v_readlane_b32 s38, v132, 12
	;; [unrolled: 5-line block ×17, first 2 shown]
	v_add_f64 v[4:5], v[2:3], v[40:41]
	v_readlane_b32 s39, v132, 43
	v_cndmask_b32_e64 v3, v3, v5, s[38:39]
	v_cndmask_b32_e64 v2, v2, v4, s[38:39]
	v_add_f64 v[4:5], v[2:3], v[42:43]
	v_cndmask_b32_e64 v3, v3, v5, s[40:41]
	v_cndmask_b32_e64 v2, v2, v4, s[40:41]
	v_add_f64 v[4:5], v[2:3], v[44:45]
	;; [unrolled: 3-line block ×44, first 2 shown]
	v_mbcnt_hi_u32_b32 v1, -1, v1
	v_cndmask_b32_e64 v3, v3, v5, s[34:35]
	v_cndmask_b32_e64 v2, v2, v4, s[34:35]
	v_and_b32_e32 v6, 63, v1
	v_add_f64 v[4:5], v[2:3], v[130:131]
	v_cmp_ne_u32_e32 vcc, 63, v6
	v_cndmask_b32_e64 v2, v2, v4, s[36:37]
	v_addc_co_u32_e32 v4, vcc, 0, v1, vcc
	v_cndmask_b32_e64 v3, v3, v5, s[36:37]
	v_lshlrev_b32_e32 v5, 2, v4
	ds_bpermute_b32 v4, v5, v2
	ds_bpermute_b32 v5, v5, v3
	s_min_u32 s4, s33, 0x100
	v_and_b32_e32 v7, 0xc0, v0
	v_sub_u32_e64 v7, s4, v7 clamp
	v_add_u32_e32 v8, 1, v1
	s_waitcnt lgkmcnt(0)
	v_add_f64 v[4:5], v[2:3], v[4:5]
	v_cmp_lt_u32_e32 vcc, v8, v7
	v_cndmask_b32_e32 v2, v2, v4, vcc
	v_cndmask_b32_e32 v3, v3, v5, vcc
	v_cmp_gt_u32_e32 vcc, 62, v6
	v_cndmask_b32_e64 v4, 0, 1, vcc
	v_lshlrev_b32_e32 v4, 1, v4
	v_add_lshl_u32 v5, v4, v1, 2
	ds_bpermute_b32 v4, v5, v2
	ds_bpermute_b32 v5, v5, v3
	v_add_u32_e32 v8, 2, v1
	v_cmp_lt_u32_e32 vcc, v8, v7
	v_add_u32_e32 v8, 4, v1
	v_cmp_gt_u32_e64 s[0:1], 32, v6
	s_waitcnt lgkmcnt(0)
	v_add_f64 v[4:5], v[2:3], v[4:5]
	v_cndmask_b32_e32 v2, v2, v4, vcc
	v_cndmask_b32_e32 v3, v3, v5, vcc
	v_cmp_gt_u32_e32 vcc, 60, v6
	v_cndmask_b32_e64 v4, 0, 1, vcc
	v_lshlrev_b32_e32 v4, 2, v4
	v_add_lshl_u32 v5, v4, v1, 2
	ds_bpermute_b32 v4, v5, v2
	ds_bpermute_b32 v5, v5, v3
	v_cmp_lt_u32_e32 vcc, v8, v7
	v_add_u32_e32 v8, 8, v1
	s_waitcnt lgkmcnt(0)
	v_add_f64 v[4:5], v[2:3], v[4:5]
	v_cndmask_b32_e32 v2, v2, v4, vcc
	v_cndmask_b32_e32 v3, v3, v5, vcc
	v_cmp_gt_u32_e32 vcc, 56, v6
	v_cndmask_b32_e64 v4, 0, 1, vcc
	v_lshlrev_b32_e32 v4, 3, v4
	v_add_lshl_u32 v5, v4, v1, 2
	ds_bpermute_b32 v4, v5, v2
	ds_bpermute_b32 v5, v5, v3
	v_cmp_lt_u32_e32 vcc, v8, v7
	v_add_u32_e32 v8, 16, v1
	s_waitcnt lgkmcnt(0)
	v_add_f64 v[4:5], v[2:3], v[4:5]
	v_cndmask_b32_e32 v2, v2, v4, vcc
	v_cndmask_b32_e32 v3, v3, v5, vcc
	v_cmp_gt_u32_e32 vcc, 48, v6
	v_cndmask_b32_e64 v4, 0, 1, vcc
	v_lshlrev_b32_e32 v4, 4, v4
	v_add_lshl_u32 v5, v4, v1, 2
	ds_bpermute_b32 v4, v5, v2
	ds_bpermute_b32 v5, v5, v3
	v_cmp_lt_u32_e32 vcc, v8, v7
	s_waitcnt lgkmcnt(0)
	v_add_f64 v[4:5], v[2:3], v[4:5]
	v_cndmask_b32_e32 v2, v2, v4, vcc
	v_cndmask_b32_e64 v4, 0, 1, s[0:1]
	v_lshlrev_b32_e32 v4, 5, v4
	v_add_lshl_u32 v6, v4, v1, 2
	v_cndmask_b32_e32 v3, v3, v5, vcc
	ds_bpermute_b32 v4, v6, v2
	ds_bpermute_b32 v5, v6, v3
	v_add_u32_e32 v6, 32, v1
	v_cmp_lt_u32_e32 vcc, v6, v7
	s_waitcnt lgkmcnt(0)
	v_add_f64 v[4:5], v[2:3], v[4:5]
	v_cndmask_b32_e32 v5, v3, v5, vcc
	v_cndmask_b32_e32 v4, v2, v4, vcc
	v_cmp_eq_u32_e32 vcc, 0, v1
	s_and_saveexec_b64 s[0:1], vcc
	s_cbranch_execz .LBB2_137
; %bb.136:
	v_lshrrev_b32_e32 v2, 3, v0
	v_and_b32_e32 v2, 24, v2
	ds_write_b64 v2, v[4:5] offset:32
.LBB2_137:
	s_or_b64 exec, exec, s[0:1]
	v_cmp_gt_u32_e32 vcc, 4, v0
	s_waitcnt lgkmcnt(0)
	s_barrier
	s_and_saveexec_b64 s[2:3], vcc
	s_cbranch_execz .LBB2_141
; %bb.138:
	v_lshlrev_b32_e32 v2, 3, v1
	ds_read_b64 v[4:5], v2 offset:32
	v_and_b32_e32 v8, 3, v1
	v_cmp_ne_u32_e32 vcc, 3, v8
	v_addc_co_u32_e32 v2, vcc, 0, v1, vcc
	v_lshlrev_b32_e32 v3, 2, v2
	s_waitcnt lgkmcnt(0)
	ds_bpermute_b32 v2, v3, v4
	ds_bpermute_b32 v3, v3, v5
	s_add_i32 s4, s4, 63
	v_cmp_gt_u32_e64 s[0:1], 2, v8
	s_lshr_b32 s4, s4, 6
	v_add_u32_e32 v6, 1, v8
	v_cndmask_b32_e64 v9, 0, 1, s[0:1]
	s_waitcnt lgkmcnt(0)
	v_add_f64 v[2:3], v[4:5], v[2:3]
	v_cmp_gt_u32_e32 vcc, s4, v6
	v_lshlrev_b32_e32 v9, 1, v9
	v_cndmask_b32_e32 v7, v5, v3, vcc
	v_cndmask_b32_e32 v6, v4, v2, vcc
	v_add_lshl_u32 v1, v9, v1, 2
	ds_bpermute_b32 v6, v1, v6
	ds_bpermute_b32 v7, v1, v7
	s_and_saveexec_b64 s[0:1], vcc
	s_cbranch_execz .LBB2_140
; %bb.139:
	v_add_u32_e32 v1, 2, v8
	s_waitcnt lgkmcnt(0)
	v_add_f64 v[4:5], v[2:3], v[6:7]
	v_cmp_gt_u32_e32 vcc, s4, v1
	v_cndmask_b32_e32 v5, v3, v5, vcc
	v_cndmask_b32_e32 v4, v2, v4, vcc
.LBB2_140:
	s_or_b64 exec, exec, s[0:1]
.LBB2_141:
	s_or_b64 exec, exec, s[2:3]
.LBB2_142:
	v_cmp_eq_u32_e32 vcc, 0, v0
	s_and_saveexec_b64 s[0:1], vcc
	s_cbranch_execnz .LBB2_144
; %bb.143:
	s_endpgm
.LBB2_144:
	s_lshl_b64 s[0:1], s[6:7], 3
	v_readlane_b32 s4, v132, 0
	v_readlane_b32 s5, v132, 1
	;; [unrolled: 1-line block ×8, first 2 shown]
	s_mov_b64 s[2:3], s[6:7]
	s_mov_b64 s[4:5], s[8:9]
	s_add_u32 s0, s4, s0
	s_addc_u32 s1, s5, s1
	s_mov_b64 s[6:7], s[10:11]
	s_cmp_eq_u64 s[2:3], 0
	v_add_f64 v[0:1], v[4:5], s[6:7]
	v_mov_b32_e32 v3, s7
	s_cselect_b64 vcc, -1, 0
	v_cndmask_b32_e32 v1, v1, v3, vcc
	v_mov_b32_e32 v3, s6
	v_mov_b32_e32 v2, 0
	v_cndmask_b32_e32 v0, v0, v3, vcc
	global_store_dwordx2 v2, v[0:1], s[0:1]
	s_endpgm
	.section	.rodata,"a",@progbits
	.p2align	6, 0x0
	.amdhsa_kernel _ZN7rocprim6detail19block_reduce_kernelILb1ELb1ELj4ENS0_21wrapped_reduce_configINS_14default_configEdEEdPdS5_dNS_4plusIdEEEEvT4_mT5_T6_T7_
		.amdhsa_group_segment_fixed_size 64
		.amdhsa_private_segment_fixed_size 0
		.amdhsa_kernarg_size 36
		.amdhsa_user_sgpr_count 6
		.amdhsa_user_sgpr_private_segment_buffer 1
		.amdhsa_user_sgpr_dispatch_ptr 0
		.amdhsa_user_sgpr_queue_ptr 0
		.amdhsa_user_sgpr_kernarg_segment_ptr 1
		.amdhsa_user_sgpr_dispatch_id 0
		.amdhsa_user_sgpr_flat_scratch_init 0
		.amdhsa_user_sgpr_kernarg_preload_length 0
		.amdhsa_user_sgpr_kernarg_preload_offset 0
		.amdhsa_user_sgpr_private_segment_size 0
		.amdhsa_uses_dynamic_stack 0
		.amdhsa_system_sgpr_private_segment_wavefront_offset 0
		.amdhsa_system_sgpr_workgroup_id_x 1
		.amdhsa_system_sgpr_workgroup_id_y 0
		.amdhsa_system_sgpr_workgroup_id_z 0
		.amdhsa_system_sgpr_workgroup_info 0
		.amdhsa_system_vgpr_workitem_id 0
		.amdhsa_next_free_vgpr 133
		.amdhsa_next_free_sgpr 96
		.amdhsa_accum_offset 136
		.amdhsa_reserve_vcc 1
		.amdhsa_reserve_flat_scratch 0
		.amdhsa_float_round_mode_32 0
		.amdhsa_float_round_mode_16_64 0
		.amdhsa_float_denorm_mode_32 3
		.amdhsa_float_denorm_mode_16_64 3
		.amdhsa_dx10_clamp 1
		.amdhsa_ieee_mode 1
		.amdhsa_fp16_overflow 0
		.amdhsa_tg_split 0
		.amdhsa_exception_fp_ieee_invalid_op 0
		.amdhsa_exception_fp_denorm_src 0
		.amdhsa_exception_fp_ieee_div_zero 0
		.amdhsa_exception_fp_ieee_overflow 0
		.amdhsa_exception_fp_ieee_underflow 0
		.amdhsa_exception_fp_ieee_inexact 0
		.amdhsa_exception_int_div_zero 0
	.end_amdhsa_kernel
	.section	.text._ZN7rocprim6detail19block_reduce_kernelILb1ELb1ELj4ENS0_21wrapped_reduce_configINS_14default_configEdEEdPdS5_dNS_4plusIdEEEEvT4_mT5_T6_T7_,"axG",@progbits,_ZN7rocprim6detail19block_reduce_kernelILb1ELb1ELj4ENS0_21wrapped_reduce_configINS_14default_configEdEEdPdS5_dNS_4plusIdEEEEvT4_mT5_T6_T7_,comdat
.Lfunc_end2:
	.size	_ZN7rocprim6detail19block_reduce_kernelILb1ELb1ELj4ENS0_21wrapped_reduce_configINS_14default_configEdEEdPdS5_dNS_4plusIdEEEEvT4_mT5_T6_T7_, .Lfunc_end2-_ZN7rocprim6detail19block_reduce_kernelILb1ELb1ELj4ENS0_21wrapped_reduce_configINS_14default_configEdEEdPdS5_dNS_4plusIdEEEEvT4_mT5_T6_T7_
                                        ; -- End function
	.section	.AMDGPU.csdata,"",@progbits
; Kernel info:
; codeLenInByte = 8324
; NumSgprs: 100
; NumVgprs: 133
; NumAgprs: 0
; TotalNumVgprs: 133
; ScratchSize: 0
; MemoryBound: 0
; FloatMode: 240
; IeeeMode: 1
; LDSByteSize: 64 bytes/workgroup (compile time only)
; SGPRBlocks: 12
; VGPRBlocks: 16
; NumSGPRsForWavesPerEU: 100
; NumVGPRsForWavesPerEU: 133
; AccumOffset: 136
; Occupancy: 3
; WaveLimiterHint : 1
; COMPUTE_PGM_RSRC2:SCRATCH_EN: 0
; COMPUTE_PGM_RSRC2:USER_SGPR: 6
; COMPUTE_PGM_RSRC2:TRAP_HANDLER: 0
; COMPUTE_PGM_RSRC2:TGID_X_EN: 1
; COMPUTE_PGM_RSRC2:TGID_Y_EN: 0
; COMPUTE_PGM_RSRC2:TGID_Z_EN: 0
; COMPUTE_PGM_RSRC2:TIDIG_COMP_CNT: 0
; COMPUTE_PGM_RSRC3_GFX90A:ACCUM_OFFSET: 33
; COMPUTE_PGM_RSRC3_GFX90A:TG_SPLIT: 0
	.section	.text._ZN7rocprim6detail19block_reduce_kernelILb1ELb1ELj8ENS0_21wrapped_reduce_configINS_14default_configEdEEdPdS5_dNS_4plusIdEEEEvT4_mT5_T6_T7_,"axG",@progbits,_ZN7rocprim6detail19block_reduce_kernelILb1ELb1ELj8ENS0_21wrapped_reduce_configINS_14default_configEdEEdPdS5_dNS_4plusIdEEEEvT4_mT5_T6_T7_,comdat
	.protected	_ZN7rocprim6detail19block_reduce_kernelILb1ELb1ELj8ENS0_21wrapped_reduce_configINS_14default_configEdEEdPdS5_dNS_4plusIdEEEEvT4_mT5_T6_T7_ ; -- Begin function _ZN7rocprim6detail19block_reduce_kernelILb1ELb1ELj8ENS0_21wrapped_reduce_configINS_14default_configEdEEdPdS5_dNS_4plusIdEEEEvT4_mT5_T6_T7_
	.globl	_ZN7rocprim6detail19block_reduce_kernelILb1ELb1ELj8ENS0_21wrapped_reduce_configINS_14default_configEdEEdPdS5_dNS_4plusIdEEEEvT4_mT5_T6_T7_
	.p2align	8
	.type	_ZN7rocprim6detail19block_reduce_kernelILb1ELb1ELj8ENS0_21wrapped_reduce_configINS_14default_configEdEEdPdS5_dNS_4plusIdEEEEvT4_mT5_T6_T7_,@function
_ZN7rocprim6detail19block_reduce_kernelILb1ELb1ELj8ENS0_21wrapped_reduce_configINS_14default_configEdEEdPdS5_dNS_4plusIdEEEEvT4_mT5_T6_T7_: ; @_ZN7rocprim6detail19block_reduce_kernelILb1ELb1ELj8ENS0_21wrapped_reduce_configINS_14default_configEdEEdPdS5_dNS_4plusIdEEEEvT4_mT5_T6_T7_
; %bb.0:
	s_load_dwordx8 s[12:19], s[4:5], 0x0
	s_lshl_b32 s0, s6, 15
	s_mov_b32 s1, 0
	s_mov_b32 s20, s6
	s_lshl_b64 s[4:5], s[0:1], 3
	s_waitcnt lgkmcnt(0)
	s_mov_b64 s[8:9], s[16:17]
	s_lshr_b64 s[2:3], s[14:15], 15
	s_mov_b64 s[10:11], s[18:19]
	s_mov_b64 s[6:7], s[14:15]
                                        ; implicit-def: $vgpr253 : SGPR spill to VGPR lane
	s_mov_b32 s21, s1
	s_add_u32 s1, s12, s4
	v_writelane_b32 v253, s4, 0
	v_writelane_b32 v253, s5, 1
	;; [unrolled: 1-line block ×8, first 2 shown]
	s_addc_u32 s4, s13, s5
	v_lshlrev_b32_e32 v1, 3, v0
	v_writelane_b32 v253, s20, 8
	v_mov_b32_e32 v2, s4
	v_add_co_u32_e32 v14, vcc, s1, v1
	v_writelane_b32 v253, s21, 9
	s_cmp_lg_u64 s[2:3], s[20:21]
	v_addc_co_u32_e32 v15, vcc, 0, v2, vcc
	s_cbranch_scc0 .LBB3_6
; %bb.1:
	v_add_co_u32_e32 v12, vcc, 0x1000, v14
	v_addc_co_u32_e32 v13, vcc, 0, v15, vcc
	global_load_dwordx2 v[8:9], v[14:15], off
	global_load_dwordx2 v[10:11], v[14:15], off offset:2048
	global_load_dwordx2 v[4:5], v[12:13], off
	global_load_dwordx2 v[6:7], v[12:13], off offset:2048
	v_add_co_u32_e32 v20, vcc, 0x2000, v14
	v_addc_co_u32_e32 v21, vcc, 0, v15, vcc
	v_add_co_u32_e32 v22, vcc, 0x3000, v14
	v_addc_co_u32_e32 v23, vcc, 0, v15, vcc
	global_load_dwordx2 v[12:13], v[20:21], off
	global_load_dwordx2 a[0:1], v[20:21], off offset:2048
	global_load_dwordx2 v[16:17], v[22:23], off
	global_load_dwordx2 v[18:19], v[22:23], off offset:2048
	v_add_co_u32_e32 v28, vcc, 0x4000, v14
	v_addc_co_u32_e32 v29, vcc, 0, v15, vcc
	;; [unrolled: 8-line block ×15, first 2 shown]
	v_add_co_u32_e32 v130, vcc, 0x1f000, v14
	v_addc_co_u32_e32 v131, vcc, 0, v15, vcc
	global_load_dwordx2 v[124:125], v[126:127], off
	s_nop 0
	global_load_dwordx2 v[126:127], v[126:127], off offset:2048
	s_nop 0
	global_load_dwordx2 v[128:129], v[130:131], off
	s_nop 0
	global_load_dwordx2 v[130:131], v[130:131], off offset:2048
	v_add_co_u32_e32 v134, vcc, 0x20000, v14
	v_addc_co_u32_e32 v135, vcc, 0, v15, vcc
	v_add_co_u32_e32 v138, vcc, 0x21000, v14
	v_addc_co_u32_e32 v139, vcc, 0, v15, vcc
	global_load_dwordx2 v[132:133], v[134:135], off
	s_nop 0
	global_load_dwordx2 v[134:135], v[134:135], off offset:2048
	s_nop 0
	global_load_dwordx2 v[136:137], v[138:139], off
	s_nop 0
	global_load_dwordx2 v[138:139], v[138:139], off offset:2048
	v_add_co_u32_e32 v142, vcc, 0x22000, v14
	v_addc_co_u32_e32 v143, vcc, 0, v15, vcc
	;; [unrolled: 11-line block ×5, first 2 shown]
	s_waitcnt vmcnt(62)
	v_add_f64 v[8:9], v[8:9], v[10:11]
	v_add_co_u32_e32 v170, vcc, 0x29000, v14
	v_add_f64 v[8:9], v[8:9], v[4:5]
	v_addc_co_u32_e32 v171, vcc, 0, v15, vcc
	v_add_f64 v[6:7], v[8:9], v[6:7]
	global_load_dwordx2 v[164:165], v[166:167], off
	s_nop 0
	global_load_dwordx2 v[166:167], v[166:167], off offset:2048
	s_nop 0
	global_load_dwordx2 v[168:169], v[170:171], off
	s_nop 0
	global_load_dwordx2 v[170:171], v[170:171], off offset:2048
	v_add_co_u32_e32 v174, vcc, 0x2a000, v14
	v_add_f64 v[6:7], v[6:7], v[12:13]
	v_accvgpr_read_b32 v13, a1
	v_addc_co_u32_e32 v175, vcc, 0, v15, vcc
	v_accvgpr_read_b32 v12, a0
	v_add_co_u32_e32 v178, vcc, 0x2b000, v14
	v_add_f64 v[6:7], v[6:7], v[12:13]
	v_addc_co_u32_e32 v179, vcc, 0, v15, vcc
	v_add_f64 v[6:7], v[6:7], v[16:17]
	global_load_dwordx2 v[172:173], v[174:175], off
	s_nop 0
	global_load_dwordx2 v[174:175], v[174:175], off offset:2048
	s_nop 0
	global_load_dwordx2 v[176:177], v[178:179], off
	s_nop 0
	global_load_dwordx2 v[178:179], v[178:179], off offset:2048
	v_add_co_u32_e32 v182, vcc, 0x2c000, v14
	v_add_f64 v[6:7], v[6:7], v[18:19]
	v_addc_co_u32_e32 v183, vcc, 0, v15, vcc
	v_add_f64 v[6:7], v[6:7], v[20:21]
	v_add_co_u32_e32 v186, vcc, 0x2d000, v14
	v_add_f64 v[6:7], v[6:7], v[22:23]
	v_addc_co_u32_e32 v187, vcc, 0, v15, vcc
	v_add_f64 v[6:7], v[6:7], v[24:25]
	global_load_dwordx2 v[180:181], v[182:183], off
	s_nop 0
	global_load_dwordx2 v[182:183], v[182:183], off offset:2048
	s_nop 0
	global_load_dwordx2 v[184:185], v[186:187], off
	s_nop 0
	global_load_dwordx2 v[186:187], v[186:187], off offset:2048
	v_add_co_u32_e32 v190, vcc, 0x2e000, v14
	v_add_f64 v[6:7], v[6:7], v[26:27]
	v_addc_co_u32_e32 v191, vcc, 0, v15, vcc
	v_add_f64 v[6:7], v[6:7], v[28:29]
	;; [unrolled: 15-line block ×3, first 2 shown]
	v_add_co_u32_e32 v198, vcc, 0x31000, v14
	v_add_f64 v[6:7], v[6:7], v[38:39]
	v_addc_co_u32_e32 v199, vcc, 0, v15, vcc
	s_waitcnt vmcnt(62)
	v_add_f64 v[6:7], v[6:7], v[40:41]
	global_load_dwordx2 v[200:201], v[196:197], off
	s_nop 0
	global_load_dwordx2 v[196:197], v[196:197], off offset:2048
	s_nop 0
	global_load_dwordx2 v[202:203], v[198:199], off
	s_nop 0
	global_load_dwordx2 v[198:199], v[198:199], off offset:2048
	v_add_co_u32_e32 v204, vcc, 0x32000, v14
	v_add_f64 v[6:7], v[6:7], v[42:43]
	v_addc_co_u32_e32 v205, vcc, 0, v15, vcc
	v_add_f64 v[6:7], v[6:7], v[44:45]
	v_add_co_u32_e32 v206, vcc, 0x33000, v14
	v_add_f64 v[6:7], v[6:7], v[46:47]
	v_addc_co_u32_e32 v207, vcc, 0, v15, vcc
	v_add_f64 v[6:7], v[6:7], v[48:49]
	global_load_dwordx2 v[208:209], v[204:205], off
	s_nop 0
	global_load_dwordx2 v[204:205], v[204:205], off offset:2048
	s_nop 0
	global_load_dwordx2 v[210:211], v[206:207], off
	s_nop 0
	global_load_dwordx2 v[206:207], v[206:207], off offset:2048
	v_add_co_u32_e32 v212, vcc, 0x34000, v14
	v_add_f64 v[6:7], v[6:7], v[50:51]
	v_addc_co_u32_e32 v213, vcc, 0, v15, vcc
	v_add_f64 v[6:7], v[6:7], v[52:53]
	v_add_co_u32_e32 v214, vcc, 0x35000, v14
	v_add_f64 v[6:7], v[6:7], v[54:55]
	v_addc_co_u32_e32 v215, vcc, 0, v15, vcc
	;; [unrolled: 15-line block ×4, first 2 shown]
	s_waitcnt vmcnt(62)
	v_add_f64 v[6:7], v[72:73], v[6:7]
	global_load_dwordx2 v[232:233], v[228:229], off
	s_nop 0
	global_load_dwordx2 v[228:229], v[228:229], off offset:2048
	s_nop 0
	global_load_dwordx2 v[234:235], v[230:231], off
	s_nop 0
	global_load_dwordx2 v[230:231], v[230:231], off offset:2048
	v_add_co_u32_e32 v236, vcc, 0x3a000, v14
	v_add_f64 v[6:7], v[74:75], v[6:7]
	v_addc_co_u32_e32 v237, vcc, 0, v15, vcc
	v_add_f64 v[6:7], v[76:77], v[6:7]
	v_add_co_u32_e32 v238, vcc, 0x3b000, v14
	v_add_f64 v[6:7], v[78:79], v[6:7]
	v_addc_co_u32_e32 v239, vcc, 0, v15, vcc
	v_add_f64 v[6:7], v[80:81], v[6:7]
	global_load_dwordx2 v[240:241], v[236:237], off
	s_nop 0
	global_load_dwordx2 v[236:237], v[236:237], off offset:2048
	s_nop 0
	global_load_dwordx2 v[242:243], v[238:239], off
	s_nop 0
	global_load_dwordx2 v[238:239], v[238:239], off offset:2048
	v_add_co_u32_e32 v244, vcc, 0x3c000, v14
	v_add_f64 v[6:7], v[82:83], v[6:7]
	v_addc_co_u32_e32 v245, vcc, 0, v15, vcc
	v_add_f64 v[6:7], v[84:85], v[6:7]
	v_add_co_u32_e32 v246, vcc, 0x3d000, v14
	v_add_f64 v[6:7], v[86:87], v[6:7]
	v_addc_co_u32_e32 v247, vcc, 0, v15, vcc
	;; [unrolled: 15-line block ×3, first 2 shown]
	v_add_f64 v[6:7], v[96:97], v[6:7]
	global_load_dwordx2 v[8:9], v[2:3], off
	s_nop 0
	global_load_dwordx2 v[2:3], v[2:3], off offset:2048
	s_nop 0
	global_load_dwordx2 v[4:5], v[10:11], off
	s_nop 0
	global_load_dwordx2 v[10:11], v[10:11], off offset:2048
	v_add_f64 v[6:7], v[98:99], v[6:7]
	v_add_f64 v[6:7], v[100:101], v[6:7]
	v_add_f64 v[6:7], v[102:103], v[6:7]
	s_waitcnt vmcnt(62)
	v_add_f64 v[6:7], v[104:105], v[6:7]
	v_add_f64 v[6:7], v[106:107], v[6:7]
	;; [unrolled: 1-line block ×16, first 2 shown]
	s_waitcnt vmcnt(61)
	v_add_f64 v[6:7], v[136:137], v[6:7]
	s_waitcnt vmcnt(60)
	v_add_f64 v[6:7], v[138:139], v[6:7]
	;; [unrolled: 2-line block ×62, first 2 shown]
	v_mbcnt_lo_u32_b32 v1, -1, 0
	v_mbcnt_hi_u32_b32 v1, -1, v1
	v_mov_b32_dpp v4, v2 quad_perm:[1,0,3,2] row_mask:0xf bank_mask:0xf
	v_mov_b32_dpp v5, v3 quad_perm:[1,0,3,2] row_mask:0xf bank_mask:0xf
	v_add_f64 v[2:3], v[2:3], v[4:5]
	v_cmp_eq_u32_e32 vcc, 0, v1
	s_nop 0
	v_mov_b32_dpp v4, v2 quad_perm:[2,3,0,1] row_mask:0xf bank_mask:0xf
	v_mov_b32_dpp v5, v3 quad_perm:[2,3,0,1] row_mask:0xf bank_mask:0xf
	v_add_f64 v[2:3], v[2:3], v[4:5]
	s_nop 1
	v_mov_b32_dpp v4, v2 row_ror:4 row_mask:0xf bank_mask:0xf
	v_mov_b32_dpp v5, v3 row_ror:4 row_mask:0xf bank_mask:0xf
	v_add_f64 v[2:3], v[2:3], v[4:5]
	s_nop 1
	v_mov_b32_dpp v4, v2 row_ror:8 row_mask:0xf bank_mask:0xf
	v_mov_b32_dpp v5, v3 row_ror:8 row_mask:0xf bank_mask:0xf
	v_add_f64 v[2:3], v[2:3], v[4:5]
	s_nop 1
	v_mov_b32_dpp v4, v2 row_bcast:15 row_mask:0xf bank_mask:0xf
	v_mov_b32_dpp v5, v3 row_bcast:15 row_mask:0xf bank_mask:0xf
	v_add_f64 v[2:3], v[2:3], v[4:5]
	s_nop 1
	v_mov_b32_dpp v4, v2 row_bcast:31 row_mask:0xf bank_mask:0xf
	v_mov_b32_dpp v5, v3 row_bcast:31 row_mask:0xf bank_mask:0xf
	v_add_f64 v[2:3], v[2:3], v[4:5]
	v_bfrev_b32_e32 v4, 0.5
	v_lshl_or_b32 v5, v1, 2, v4
	ds_bpermute_b32 v4, v5, v2
	ds_bpermute_b32 v5, v5, v3
	s_and_saveexec_b64 s[2:3], vcc
	s_cbranch_execz .LBB3_3
; %bb.2:
	v_lshrrev_b32_e32 v2, 3, v0
	v_and_b32_e32 v2, 24, v2
	s_waitcnt lgkmcnt(0)
	ds_write_b64 v2, v[4:5]
.LBB3_3:
	s_or_b64 exec, exec, s[2:3]
	v_cmp_gt_u32_e32 vcc, 64, v0
	s_waitcnt lgkmcnt(0)
	s_barrier
	s_and_saveexec_b64 s[2:3], vcc
	s_cbranch_execz .LBB3_5
; %bb.4:
	v_and_b32_e32 v6, 3, v1
	v_lshlrev_b32_e32 v2, 3, v6
	ds_read_b64 v[2:3], v2
	v_cmp_ne_u32_e32 vcc, 3, v6
	v_addc_co_u32_e32 v4, vcc, 0, v1, vcc
	v_lshlrev_b32_e32 v5, 2, v4
	s_waitcnt lgkmcnt(0)
	ds_bpermute_b32 v4, v5, v2
	ds_bpermute_b32 v5, v5, v3
	v_cmp_gt_u32_e32 vcc, 2, v6
	v_cndmask_b32_e64 v6, 0, 1, vcc
	v_lshlrev_b32_e32 v6, 1, v6
	v_add_lshl_u32 v1, v6, v1, 2
	s_waitcnt lgkmcnt(0)
	v_add_f64 v[2:3], v[2:3], v[4:5]
	ds_bpermute_b32 v4, v1, v2
	ds_bpermute_b32 v5, v1, v3
	s_waitcnt lgkmcnt(0)
	v_add_f64 v[4:5], v[2:3], v[4:5]
.LBB3_5:
	s_or_b64 exec, exec, s[2:3]
	s_branch .LBB3_270
.LBB3_6:
                                        ; implicit-def: $vgpr4_vgpr5
	s_cbranch_execz .LBB3_270
; %bb.7:
	v_readlane_b32 s4, v253, 0
	v_readlane_b32 s6, v253, 2
	s_sub_i32 s33, s6, s0
	v_cmp_gt_u32_e32 vcc, s33, v0
	v_readlane_b32 s5, v253, 1
	v_readlane_b32 s7, v253, 3
	v_readlane_b32 s8, v253, 4
	v_readlane_b32 s9, v253, 5
	v_readlane_b32 s10, v253, 6
	v_readlane_b32 s11, v253, 7
                                        ; implicit-def: $vgpr4_vgpr5
	s_and_saveexec_b64 s[0:1], vcc
	s_cbranch_execz .LBB3_9
; %bb.8:
	global_load_dwordx2 v[4:5], v[14:15], off
.LBB3_9:
	s_or_b64 exec, exec, s[0:1]
	v_or_b32_e32 v1, 0x100, v0
	v_cmp_gt_u32_e64 s[2:3], s33, v1
                                        ; implicit-def: $vgpr2_vgpr3
	s_mov_b64 s[0:1], exec
	v_writelane_b32 v253, s2, 10
	v_writelane_b32 v253, s3, 11
	s_and_b64 s[2:3], s[0:1], s[2:3]
	s_mov_b64 exec, s[2:3]
	s_cbranch_execz .LBB3_11
; %bb.10:
	global_load_dwordx2 v[2:3], v[14:15], off offset:2048
.LBB3_11:
	s_or_b64 exec, exec, s[0:1]
	v_or_b32_e32 v1, 0x200, v0
	v_cmp_gt_u32_e64 s[2:3], s33, v1
                                        ; implicit-def: $agpr2_agpr3
	s_mov_b64 s[0:1], exec
	v_writelane_b32 v253, s2, 12
	v_writelane_b32 v253, s3, 13
	s_and_b64 s[2:3], s[0:1], s[2:3]
	s_mov_b64 exec, s[2:3]
	s_cbranch_execz .LBB3_13
; %bb.12:
	v_add_co_u32_e32 v6, vcc, 0x1000, v14
	v_addc_co_u32_e32 v7, vcc, 0, v15, vcc
	global_load_dwordx2 a[2:3], v[6:7], off
.LBB3_13:
	s_or_b64 exec, exec, s[0:1]
	v_or_b32_e32 v1, 0x300, v0
	v_cmp_gt_u32_e64 s[2:3], s33, v1
                                        ; implicit-def: $agpr4_agpr5
	s_mov_b64 s[0:1], exec
	v_writelane_b32 v253, s2, 14
	v_writelane_b32 v253, s3, 15
	s_and_b64 s[2:3], s[0:1], s[2:3]
	s_mov_b64 exec, s[2:3]
	s_cbranch_execz .LBB3_15
; %bb.14:
	v_add_co_u32_e32 v6, vcc, 0x1000, v14
	v_addc_co_u32_e32 v7, vcc, 0, v15, vcc
	global_load_dwordx2 a[4:5], v[6:7], off offset:2048
.LBB3_15:
	s_or_b64 exec, exec, s[0:1]
	v_or_b32_e32 v1, 0x400, v0
	v_cmp_gt_u32_e64 s[2:3], s33, v1
                                        ; implicit-def: $agpr6_agpr7
	s_mov_b64 s[0:1], exec
	v_writelane_b32 v253, s2, 16
	v_writelane_b32 v253, s3, 17
	s_and_b64 s[2:3], s[0:1], s[2:3]
	s_mov_b64 exec, s[2:3]
	s_cbranch_execz .LBB3_17
; %bb.16:
	v_add_co_u32_e32 v6, vcc, 0x2000, v14
	v_addc_co_u32_e32 v7, vcc, 0, v15, vcc
	global_load_dwordx2 a[6:7], v[6:7], off
.LBB3_17:
	s_or_b64 exec, exec, s[0:1]
	v_or_b32_e32 v1, 0x500, v0
	v_cmp_gt_u32_e64 s[2:3], s33, v1
                                        ; implicit-def: $agpr8_agpr9
	s_mov_b64 s[0:1], exec
	v_writelane_b32 v253, s2, 18
	v_writelane_b32 v253, s3, 19
	s_and_b64 s[2:3], s[0:1], s[2:3]
	s_mov_b64 exec, s[2:3]
	s_cbranch_execz .LBB3_19
; %bb.18:
	v_add_co_u32_e32 v6, vcc, 0x2000, v14
	v_addc_co_u32_e32 v7, vcc, 0, v15, vcc
	global_load_dwordx2 a[8:9], v[6:7], off offset:2048
.LBB3_19:
	s_or_b64 exec, exec, s[0:1]
	v_or_b32_e32 v1, 0x600, v0
	v_cmp_gt_u32_e64 s[2:3], s33, v1
                                        ; implicit-def: $vgpr16_vgpr17
	s_mov_b64 s[0:1], exec
	v_writelane_b32 v253, s2, 20
	v_writelane_b32 v253, s3, 21
	s_and_b64 s[2:3], s[0:1], s[2:3]
	s_mov_b64 exec, s[2:3]
	s_cbranch_execz .LBB3_21
; %bb.20:
	v_add_co_u32_e32 v6, vcc, 0x3000, v14
	v_addc_co_u32_e32 v7, vcc, 0, v15, vcc
	global_load_dwordx2 v[16:17], v[6:7], off
.LBB3_21:
	s_or_b64 exec, exec, s[0:1]
	v_or_b32_e32 v1, 0x700, v0
	v_cmp_gt_u32_e64 s[2:3], s33, v1
                                        ; implicit-def: $vgpr18_vgpr19
	s_mov_b64 s[0:1], exec
	v_writelane_b32 v253, s2, 22
	v_writelane_b32 v253, s3, 23
	s_and_b64 s[2:3], s[0:1], s[2:3]
	s_mov_b64 exec, s[2:3]
	s_cbranch_execz .LBB3_23
; %bb.22:
	v_add_co_u32_e32 v6, vcc, 0x3000, v14
	v_addc_co_u32_e32 v7, vcc, 0, v15, vcc
	global_load_dwordx2 v[18:19], v[6:7], off offset:2048
.LBB3_23:
	s_or_b64 exec, exec, s[0:1]
	v_or_b32_e32 v1, 0x800, v0
	v_cmp_gt_u32_e64 s[2:3], s33, v1
                                        ; implicit-def: $vgpr20_vgpr21
	s_mov_b64 s[0:1], exec
	v_writelane_b32 v253, s2, 24
	v_writelane_b32 v253, s3, 25
	s_and_b64 s[2:3], s[0:1], s[2:3]
	s_mov_b64 exec, s[2:3]
	s_cbranch_execz .LBB3_25
; %bb.24:
	v_add_co_u32_e32 v6, vcc, 0x4000, v14
	v_addc_co_u32_e32 v7, vcc, 0, v15, vcc
	global_load_dwordx2 v[20:21], v[6:7], off
.LBB3_25:
	s_or_b64 exec, exec, s[0:1]
	v_or_b32_e32 v1, 0x900, v0
	v_cmp_gt_u32_e64 s[2:3], s33, v1
                                        ; implicit-def: $vgpr22_vgpr23
	s_mov_b64 s[0:1], exec
	v_writelane_b32 v253, s2, 26
	v_writelane_b32 v253, s3, 27
	s_and_b64 s[2:3], s[0:1], s[2:3]
	s_mov_b64 exec, s[2:3]
	s_cbranch_execz .LBB3_27
; %bb.26:
	v_add_co_u32_e32 v6, vcc, 0x4000, v14
	v_addc_co_u32_e32 v7, vcc, 0, v15, vcc
	global_load_dwordx2 v[22:23], v[6:7], off offset:2048
.LBB3_27:
	s_or_b64 exec, exec, s[0:1]
	v_or_b32_e32 v1, 0xa00, v0
	v_cmp_gt_u32_e64 s[2:3], s33, v1
                                        ; implicit-def: $vgpr24_vgpr25
	s_mov_b64 s[0:1], exec
	v_writelane_b32 v253, s2, 28
	v_writelane_b32 v253, s3, 29
	s_and_b64 s[2:3], s[0:1], s[2:3]
	s_mov_b64 exec, s[2:3]
	s_cbranch_execz .LBB3_29
; %bb.28:
	v_add_co_u32_e32 v6, vcc, 0x5000, v14
	v_addc_co_u32_e32 v7, vcc, 0, v15, vcc
	global_load_dwordx2 v[24:25], v[6:7], off
.LBB3_29:
	s_or_b64 exec, exec, s[0:1]
	v_or_b32_e32 v1, 0xb00, v0
	v_cmp_gt_u32_e64 s[2:3], s33, v1
                                        ; implicit-def: $vgpr26_vgpr27
	s_mov_b64 s[0:1], exec
	v_writelane_b32 v253, s2, 30
	v_writelane_b32 v253, s3, 31
	s_and_b64 s[2:3], s[0:1], s[2:3]
	s_mov_b64 exec, s[2:3]
	s_cbranch_execz .LBB3_31
; %bb.30:
	v_add_co_u32_e32 v6, vcc, 0x5000, v14
	v_addc_co_u32_e32 v7, vcc, 0, v15, vcc
	global_load_dwordx2 v[26:27], v[6:7], off offset:2048
.LBB3_31:
	s_or_b64 exec, exec, s[0:1]
	v_or_b32_e32 v1, 0xc00, v0
	v_cmp_gt_u32_e64 s[2:3], s33, v1
                                        ; implicit-def: $vgpr28_vgpr29
	s_mov_b64 s[0:1], exec
	v_writelane_b32 v253, s2, 32
	v_writelane_b32 v253, s3, 33
	s_and_b64 s[2:3], s[0:1], s[2:3]
	s_mov_b64 exec, s[2:3]
	s_cbranch_execz .LBB3_33
; %bb.32:
	v_add_co_u32_e32 v6, vcc, 0x6000, v14
	v_addc_co_u32_e32 v7, vcc, 0, v15, vcc
	global_load_dwordx2 v[28:29], v[6:7], off
.LBB3_33:
	s_or_b64 exec, exec, s[0:1]
	v_or_b32_e32 v1, 0xd00, v0
	v_cmp_gt_u32_e64 s[2:3], s33, v1
                                        ; implicit-def: $vgpr30_vgpr31
	s_mov_b64 s[0:1], exec
	v_writelane_b32 v253, s2, 34
	v_writelane_b32 v253, s3, 35
	s_and_b64 s[2:3], s[0:1], s[2:3]
	s_mov_b64 exec, s[2:3]
	s_cbranch_execz .LBB3_35
; %bb.34:
	v_add_co_u32_e32 v6, vcc, 0x6000, v14
	v_addc_co_u32_e32 v7, vcc, 0, v15, vcc
	global_load_dwordx2 v[30:31], v[6:7], off offset:2048
.LBB3_35:
	s_or_b64 exec, exec, s[0:1]
	v_or_b32_e32 v1, 0xe00, v0
	v_cmp_gt_u32_e64 s[2:3], s33, v1
                                        ; implicit-def: $vgpr32_vgpr33
	s_mov_b64 s[0:1], exec
	v_writelane_b32 v253, s2, 36
	v_writelane_b32 v253, s3, 37
	s_and_b64 s[2:3], s[0:1], s[2:3]
	s_mov_b64 exec, s[2:3]
	s_cbranch_execz .LBB3_37
; %bb.36:
	v_add_co_u32_e32 v6, vcc, 0x7000, v14
	v_addc_co_u32_e32 v7, vcc, 0, v15, vcc
	global_load_dwordx2 v[32:33], v[6:7], off
.LBB3_37:
	s_or_b64 exec, exec, s[0:1]
	v_or_b32_e32 v1, 0xf00, v0
	v_cmp_gt_u32_e64 s[2:3], s33, v1
                                        ; implicit-def: $vgpr34_vgpr35
	s_mov_b64 s[0:1], exec
	v_writelane_b32 v253, s2, 38
	v_writelane_b32 v253, s3, 39
	s_and_b64 s[2:3], s[0:1], s[2:3]
	s_mov_b64 exec, s[2:3]
	s_cbranch_execz .LBB3_39
; %bb.38:
	v_add_co_u32_e32 v6, vcc, 0x7000, v14
	v_addc_co_u32_e32 v7, vcc, 0, v15, vcc
	global_load_dwordx2 v[34:35], v[6:7], off offset:2048
.LBB3_39:
	s_or_b64 exec, exec, s[0:1]
	v_or_b32_e32 v1, 0x1000, v0
	v_cmp_gt_u32_e64 s[2:3], s33, v1
                                        ; implicit-def: $vgpr36_vgpr37
	s_mov_b64 s[0:1], exec
	v_writelane_b32 v253, s2, 40
	v_writelane_b32 v253, s3, 41
	s_and_b64 s[2:3], s[0:1], s[2:3]
	s_mov_b64 exec, s[2:3]
	s_cbranch_execz .LBB3_41
; %bb.40:
	v_add_co_u32_e32 v6, vcc, 0x8000, v14
	v_addc_co_u32_e32 v7, vcc, 0, v15, vcc
	global_load_dwordx2 v[36:37], v[6:7], off
.LBB3_41:
	s_or_b64 exec, exec, s[0:1]
	v_or_b32_e32 v1, 0x1100, v0
	v_cmp_gt_u32_e64 s[2:3], s33, v1
                                        ; implicit-def: $vgpr38_vgpr39
	s_mov_b64 s[0:1], exec
	v_writelane_b32 v253, s2, 42
	v_writelane_b32 v253, s3, 43
	s_and_b64 s[2:3], s[0:1], s[2:3]
	s_mov_b64 exec, s[2:3]
	s_cbranch_execz .LBB3_43
; %bb.42:
	v_add_co_u32_e32 v6, vcc, 0x8000, v14
	v_addc_co_u32_e32 v7, vcc, 0, v15, vcc
	global_load_dwordx2 v[38:39], v[6:7], off offset:2048
.LBB3_43:
	s_or_b64 exec, exec, s[0:1]
	v_or_b32_e32 v1, 0x1200, v0
	v_cmp_gt_u32_e64 s[2:3], s33, v1
                                        ; implicit-def: $vgpr40_vgpr41
	s_mov_b64 s[0:1], exec
	v_writelane_b32 v253, s2, 44
	v_writelane_b32 v253, s3, 45
	s_and_b64 s[2:3], s[0:1], s[2:3]
	s_mov_b64 exec, s[2:3]
	s_cbranch_execz .LBB3_45
; %bb.44:
	v_add_co_u32_e32 v6, vcc, 0x9000, v14
	v_addc_co_u32_e32 v7, vcc, 0, v15, vcc
	global_load_dwordx2 v[40:41], v[6:7], off
.LBB3_45:
	s_or_b64 exec, exec, s[0:1]
	v_or_b32_e32 v1, 0x1300, v0
	v_cmp_gt_u32_e64 s[2:3], s33, v1
                                        ; implicit-def: $vgpr42_vgpr43
	s_mov_b64 s[0:1], exec
	v_writelane_b32 v253, s2, 46
	v_writelane_b32 v253, s3, 47
	s_and_b64 s[2:3], s[0:1], s[2:3]
	s_mov_b64 exec, s[2:3]
	s_cbranch_execz .LBB3_47
; %bb.46:
	v_add_co_u32_e32 v6, vcc, 0x9000, v14
	v_addc_co_u32_e32 v7, vcc, 0, v15, vcc
	global_load_dwordx2 v[42:43], v[6:7], off offset:2048
.LBB3_47:
	s_or_b64 exec, exec, s[0:1]
	v_or_b32_e32 v1, 0x1400, v0
	v_cmp_gt_u32_e64 s[2:3], s33, v1
                                        ; implicit-def: $vgpr44_vgpr45
	s_mov_b64 s[0:1], exec
	v_writelane_b32 v253, s2, 48
	v_writelane_b32 v253, s3, 49
	s_and_b64 s[2:3], s[0:1], s[2:3]
	s_mov_b64 exec, s[2:3]
	s_cbranch_execz .LBB3_49
; %bb.48:
	v_add_co_u32_e32 v6, vcc, 0xa000, v14
	v_addc_co_u32_e32 v7, vcc, 0, v15, vcc
	global_load_dwordx2 v[44:45], v[6:7], off
.LBB3_49:
	s_or_b64 exec, exec, s[0:1]
	v_or_b32_e32 v1, 0x1500, v0
	v_cmp_gt_u32_e64 s[2:3], s33, v1
                                        ; implicit-def: $vgpr46_vgpr47
	s_mov_b64 s[0:1], exec
	v_writelane_b32 v253, s2, 50
	v_writelane_b32 v253, s3, 51
	s_and_b64 s[2:3], s[0:1], s[2:3]
	s_mov_b64 exec, s[2:3]
	s_cbranch_execz .LBB3_51
; %bb.50:
	v_add_co_u32_e32 v6, vcc, 0xa000, v14
	v_addc_co_u32_e32 v7, vcc, 0, v15, vcc
	global_load_dwordx2 v[46:47], v[6:7], off offset:2048
.LBB3_51:
	s_or_b64 exec, exec, s[0:1]
	v_or_b32_e32 v1, 0x1600, v0
	v_cmp_gt_u32_e64 s[2:3], s33, v1
                                        ; implicit-def: $vgpr48_vgpr49
	s_mov_b64 s[0:1], exec
	v_writelane_b32 v253, s2, 52
	v_writelane_b32 v253, s3, 53
	s_and_b64 s[2:3], s[0:1], s[2:3]
	s_mov_b64 exec, s[2:3]
	s_cbranch_execz .LBB3_53
; %bb.52:
	v_add_co_u32_e32 v6, vcc, 0xb000, v14
	v_addc_co_u32_e32 v7, vcc, 0, v15, vcc
	global_load_dwordx2 v[48:49], v[6:7], off
.LBB3_53:
	s_or_b64 exec, exec, s[0:1]
	v_or_b32_e32 v1, 0x1700, v0
	v_cmp_gt_u32_e64 s[2:3], s33, v1
                                        ; implicit-def: $vgpr50_vgpr51
	s_mov_b64 s[0:1], exec
	v_writelane_b32 v253, s2, 54
	v_writelane_b32 v253, s3, 55
	s_and_b64 s[2:3], s[0:1], s[2:3]
	s_mov_b64 exec, s[2:3]
	s_cbranch_execz .LBB3_55
; %bb.54:
	v_add_co_u32_e32 v6, vcc, 0xb000, v14
	v_addc_co_u32_e32 v7, vcc, 0, v15, vcc
	global_load_dwordx2 v[50:51], v[6:7], off offset:2048
.LBB3_55:
	s_or_b64 exec, exec, s[0:1]
	v_or_b32_e32 v1, 0x1800, v0
	v_cmp_gt_u32_e64 s[2:3], s33, v1
                                        ; implicit-def: $vgpr52_vgpr53
	s_mov_b64 s[0:1], exec
	v_writelane_b32 v253, s2, 56
	v_writelane_b32 v253, s3, 57
	s_and_b64 s[2:3], s[0:1], s[2:3]
	s_mov_b64 exec, s[2:3]
	s_cbranch_execz .LBB3_57
; %bb.56:
	v_add_co_u32_e32 v6, vcc, 0xc000, v14
	v_addc_co_u32_e32 v7, vcc, 0, v15, vcc
	global_load_dwordx2 v[52:53], v[6:7], off
.LBB3_57:
	s_or_b64 exec, exec, s[0:1]
	v_or_b32_e32 v1, 0x1900, v0
	v_cmp_gt_u32_e64 s[2:3], s33, v1
                                        ; implicit-def: $vgpr54_vgpr55
	s_mov_b64 s[0:1], exec
	v_writelane_b32 v253, s2, 58
	v_writelane_b32 v253, s3, 59
	s_and_b64 s[2:3], s[0:1], s[2:3]
	s_mov_b64 exec, s[2:3]
	s_cbranch_execz .LBB3_59
; %bb.58:
	v_add_co_u32_e32 v6, vcc, 0xc000, v14
	v_addc_co_u32_e32 v7, vcc, 0, v15, vcc
	global_load_dwordx2 v[54:55], v[6:7], off offset:2048
.LBB3_59:
	s_or_b64 exec, exec, s[0:1]
	v_or_b32_e32 v1, 0x1a00, v0
	v_cmp_gt_u32_e64 s[2:3], s33, v1
                                        ; implicit-def: $vgpr56_vgpr57
	s_mov_b64 s[0:1], exec
	v_writelane_b32 v253, s2, 60
	v_writelane_b32 v253, s3, 61
	s_and_b64 s[2:3], s[0:1], s[2:3]
	s_mov_b64 exec, s[2:3]
	s_cbranch_execz .LBB3_61
; %bb.60:
	v_add_co_u32_e32 v6, vcc, 0xd000, v14
	v_addc_co_u32_e32 v7, vcc, 0, v15, vcc
	global_load_dwordx2 v[56:57], v[6:7], off
.LBB3_61:
	s_or_b64 exec, exec, s[0:1]
	v_or_b32_e32 v1, 0x1b00, v0
	v_cmp_gt_u32_e64 s[2:3], s33, v1
                                        ; implicit-def: $vgpr58_vgpr59
	s_mov_b64 s[0:1], exec
	v_writelane_b32 v253, s2, 62
	v_writelane_b32 v253, s3, 63
	s_and_b64 s[2:3], s[0:1], s[2:3]
	s_mov_b64 exec, s[2:3]
	s_cbranch_execz .LBB3_63
; %bb.62:
	v_add_co_u32_e32 v6, vcc, 0xd000, v14
	v_addc_co_u32_e32 v7, vcc, 0, v15, vcc
	global_load_dwordx2 v[58:59], v[6:7], off offset:2048
.LBB3_63:
	s_or_b64 exec, exec, s[0:1]
	v_or_b32_e32 v1, 0x1c00, v0
	v_cmp_gt_u32_e64 s[2:3], s33, v1
                                        ; implicit-def: $vgpr60_vgpr61
	s_mov_b64 s[0:1], exec
                                        ; implicit-def: $vgpr254 : SGPR spill to VGPR lane
	v_writelane_b32 v254, s2, 0
	v_writelane_b32 v254, s3, 1
	s_and_b64 s[2:3], s[0:1], s[2:3]
	s_mov_b64 exec, s[2:3]
	s_cbranch_execz .LBB3_65
; %bb.64:
	v_add_co_u32_e32 v6, vcc, 0xe000, v14
	v_addc_co_u32_e32 v7, vcc, 0, v15, vcc
	global_load_dwordx2 v[60:61], v[6:7], off
.LBB3_65:
	s_or_b64 exec, exec, s[0:1]
	v_or_b32_e32 v1, 0x1d00, v0
	v_cmp_gt_u32_e64 s[2:3], s33, v1
                                        ; implicit-def: $vgpr62_vgpr63
	s_mov_b64 s[0:1], exec
	v_writelane_b32 v254, s2, 2
	v_writelane_b32 v254, s3, 3
	s_and_b64 s[2:3], s[0:1], s[2:3]
	s_mov_b64 exec, s[2:3]
	s_cbranch_execz .LBB3_67
; %bb.66:
	v_add_co_u32_e32 v6, vcc, 0xe000, v14
	v_addc_co_u32_e32 v7, vcc, 0, v15, vcc
	global_load_dwordx2 v[62:63], v[6:7], off offset:2048
.LBB3_67:
	s_or_b64 exec, exec, s[0:1]
	v_or_b32_e32 v1, 0x1e00, v0
	v_cmp_gt_u32_e64 s[2:3], s33, v1
                                        ; implicit-def: $vgpr64_vgpr65
	s_mov_b64 s[0:1], exec
	v_writelane_b32 v254, s2, 4
	v_writelane_b32 v254, s3, 5
	s_and_b64 s[2:3], s[0:1], s[2:3]
	s_mov_b64 exec, s[2:3]
	s_cbranch_execz .LBB3_69
; %bb.68:
	v_add_co_u32_e32 v6, vcc, 0xf000, v14
	v_addc_co_u32_e32 v7, vcc, 0, v15, vcc
	global_load_dwordx2 v[64:65], v[6:7], off
.LBB3_69:
	s_or_b64 exec, exec, s[0:1]
	v_or_b32_e32 v1, 0x1f00, v0
	v_cmp_gt_u32_e64 s[2:3], s33, v1
                                        ; implicit-def: $vgpr66_vgpr67
	s_mov_b64 s[0:1], exec
	v_writelane_b32 v254, s2, 6
	v_writelane_b32 v254, s3, 7
	s_and_b64 s[2:3], s[0:1], s[2:3]
	s_mov_b64 exec, s[2:3]
	s_cbranch_execz .LBB3_71
; %bb.70:
	v_add_co_u32_e32 v6, vcc, 0xf000, v14
	v_addc_co_u32_e32 v7, vcc, 0, v15, vcc
	global_load_dwordx2 v[66:67], v[6:7], off offset:2048
.LBB3_71:
	s_or_b64 exec, exec, s[0:1]
	v_or_b32_e32 v1, 0x2000, v0
	v_cmp_gt_u32_e64 s[2:3], s33, v1
                                        ; implicit-def: $vgpr68_vgpr69
	s_mov_b64 s[0:1], exec
	v_writelane_b32 v254, s2, 8
	v_writelane_b32 v254, s3, 9
	s_and_b64 s[2:3], s[0:1], s[2:3]
	s_mov_b64 exec, s[2:3]
	s_cbranch_execz .LBB3_73
; %bb.72:
	v_add_co_u32_e32 v6, vcc, 0x10000, v14
	v_addc_co_u32_e32 v7, vcc, 0, v15, vcc
	global_load_dwordx2 v[68:69], v[6:7], off
.LBB3_73:
	s_or_b64 exec, exec, s[0:1]
	v_or_b32_e32 v1, 0x2100, v0
	v_cmp_gt_u32_e64 s[2:3], s33, v1
                                        ; implicit-def: $vgpr70_vgpr71
	s_mov_b64 s[0:1], exec
	v_writelane_b32 v254, s2, 10
	v_writelane_b32 v254, s3, 11
	s_and_b64 s[2:3], s[0:1], s[2:3]
	s_mov_b64 exec, s[2:3]
	s_cbranch_execz .LBB3_75
; %bb.74:
	v_add_co_u32_e32 v6, vcc, 0x10000, v14
	v_addc_co_u32_e32 v7, vcc, 0, v15, vcc
	global_load_dwordx2 v[70:71], v[6:7], off offset:2048
.LBB3_75:
	s_or_b64 exec, exec, s[0:1]
	v_or_b32_e32 v1, 0x2200, v0
	v_cmp_gt_u32_e64 s[2:3], s33, v1
                                        ; implicit-def: $vgpr72_vgpr73
	s_mov_b64 s[0:1], exec
	v_writelane_b32 v254, s2, 12
	v_writelane_b32 v254, s3, 13
	s_and_b64 s[2:3], s[0:1], s[2:3]
	s_mov_b64 exec, s[2:3]
	s_cbranch_execz .LBB3_77
; %bb.76:
	v_add_co_u32_e32 v6, vcc, 0x11000, v14
	v_addc_co_u32_e32 v7, vcc, 0, v15, vcc
	global_load_dwordx2 v[72:73], v[6:7], off
.LBB3_77:
	s_or_b64 exec, exec, s[0:1]
	v_or_b32_e32 v1, 0x2300, v0
	v_cmp_gt_u32_e64 s[2:3], s33, v1
                                        ; implicit-def: $vgpr74_vgpr75
	s_mov_b64 s[0:1], exec
	v_writelane_b32 v254, s2, 14
	v_writelane_b32 v254, s3, 15
	s_and_b64 s[2:3], s[0:1], s[2:3]
	s_mov_b64 exec, s[2:3]
	s_cbranch_execz .LBB3_79
; %bb.78:
	v_add_co_u32_e32 v6, vcc, 0x11000, v14
	v_addc_co_u32_e32 v7, vcc, 0, v15, vcc
	global_load_dwordx2 v[74:75], v[6:7], off offset:2048
.LBB3_79:
	s_or_b64 exec, exec, s[0:1]
	v_or_b32_e32 v1, 0x2400, v0
	v_cmp_gt_u32_e64 s[2:3], s33, v1
                                        ; implicit-def: $vgpr76_vgpr77
	s_mov_b64 s[0:1], exec
	v_writelane_b32 v254, s2, 16
	v_writelane_b32 v254, s3, 17
	s_and_b64 s[2:3], s[0:1], s[2:3]
	s_mov_b64 exec, s[2:3]
	s_cbranch_execz .LBB3_81
; %bb.80:
	v_add_co_u32_e32 v6, vcc, 0x12000, v14
	v_addc_co_u32_e32 v7, vcc, 0, v15, vcc
	global_load_dwordx2 v[76:77], v[6:7], off
.LBB3_81:
	s_or_b64 exec, exec, s[0:1]
	v_or_b32_e32 v1, 0x2500, v0
	v_cmp_gt_u32_e64 s[2:3], s33, v1
                                        ; implicit-def: $vgpr78_vgpr79
	s_mov_b64 s[0:1], exec
	v_writelane_b32 v254, s2, 18
	v_writelane_b32 v254, s3, 19
	s_and_b64 s[2:3], s[0:1], s[2:3]
	s_mov_b64 exec, s[2:3]
	s_cbranch_execz .LBB3_83
; %bb.82:
	v_add_co_u32_e32 v6, vcc, 0x12000, v14
	v_addc_co_u32_e32 v7, vcc, 0, v15, vcc
	global_load_dwordx2 v[78:79], v[6:7], off offset:2048
.LBB3_83:
	s_or_b64 exec, exec, s[0:1]
	v_or_b32_e32 v1, 0x2600, v0
	v_cmp_gt_u32_e64 s[2:3], s33, v1
                                        ; implicit-def: $vgpr80_vgpr81
	s_mov_b64 s[0:1], exec
	v_writelane_b32 v254, s2, 20
	v_writelane_b32 v254, s3, 21
	s_and_b64 s[2:3], s[0:1], s[2:3]
	s_mov_b64 exec, s[2:3]
	s_cbranch_execz .LBB3_85
; %bb.84:
	v_add_co_u32_e32 v6, vcc, 0x13000, v14
	v_addc_co_u32_e32 v7, vcc, 0, v15, vcc
	global_load_dwordx2 v[80:81], v[6:7], off
.LBB3_85:
	s_or_b64 exec, exec, s[0:1]
	v_or_b32_e32 v1, 0x2700, v0
	v_cmp_gt_u32_e64 s[2:3], s33, v1
                                        ; implicit-def: $vgpr82_vgpr83
	s_mov_b64 s[0:1], exec
	v_writelane_b32 v254, s2, 22
	v_writelane_b32 v254, s3, 23
	s_and_b64 s[2:3], s[0:1], s[2:3]
	s_mov_b64 exec, s[2:3]
	s_cbranch_execz .LBB3_87
; %bb.86:
	v_add_co_u32_e32 v6, vcc, 0x13000, v14
	v_addc_co_u32_e32 v7, vcc, 0, v15, vcc
	global_load_dwordx2 v[82:83], v[6:7], off offset:2048
.LBB3_87:
	s_or_b64 exec, exec, s[0:1]
	v_or_b32_e32 v1, 0x2800, v0
	v_cmp_gt_u32_e64 s[2:3], s33, v1
                                        ; implicit-def: $vgpr84_vgpr85
	s_mov_b64 s[0:1], exec
	v_writelane_b32 v254, s2, 24
	v_writelane_b32 v254, s3, 25
	s_and_b64 s[2:3], s[0:1], s[2:3]
	s_mov_b64 exec, s[2:3]
	s_cbranch_execz .LBB3_89
; %bb.88:
	v_add_co_u32_e32 v6, vcc, 0x14000, v14
	v_addc_co_u32_e32 v7, vcc, 0, v15, vcc
	global_load_dwordx2 v[84:85], v[6:7], off
.LBB3_89:
	s_or_b64 exec, exec, s[0:1]
	v_or_b32_e32 v1, 0x2900, v0
	v_cmp_gt_u32_e64 s[2:3], s33, v1
                                        ; implicit-def: $vgpr86_vgpr87
	s_mov_b64 s[0:1], exec
	v_writelane_b32 v254, s2, 26
	v_writelane_b32 v254, s3, 27
	s_and_b64 s[2:3], s[0:1], s[2:3]
	s_mov_b64 exec, s[2:3]
	s_cbranch_execz .LBB3_91
; %bb.90:
	v_add_co_u32_e32 v6, vcc, 0x14000, v14
	v_addc_co_u32_e32 v7, vcc, 0, v15, vcc
	global_load_dwordx2 v[86:87], v[6:7], off offset:2048
.LBB3_91:
	s_or_b64 exec, exec, s[0:1]
	v_or_b32_e32 v1, 0x2a00, v0
	v_cmp_gt_u32_e64 s[2:3], s33, v1
                                        ; implicit-def: $vgpr88_vgpr89
	s_mov_b64 s[0:1], exec
	v_writelane_b32 v254, s2, 28
	v_writelane_b32 v254, s3, 29
	s_and_b64 s[2:3], s[0:1], s[2:3]
	s_mov_b64 exec, s[2:3]
	s_cbranch_execz .LBB3_93
; %bb.92:
	v_add_co_u32_e32 v6, vcc, 0x15000, v14
	v_addc_co_u32_e32 v7, vcc, 0, v15, vcc
	global_load_dwordx2 v[88:89], v[6:7], off
.LBB3_93:
	s_or_b64 exec, exec, s[0:1]
	v_or_b32_e32 v1, 0x2b00, v0
	v_cmp_gt_u32_e64 s[2:3], s33, v1
                                        ; implicit-def: $vgpr90_vgpr91
	s_mov_b64 s[0:1], exec
	v_writelane_b32 v254, s2, 30
	v_writelane_b32 v254, s3, 31
	s_and_b64 s[2:3], s[0:1], s[2:3]
	s_mov_b64 exec, s[2:3]
	s_cbranch_execz .LBB3_95
; %bb.94:
	v_add_co_u32_e32 v6, vcc, 0x15000, v14
	v_addc_co_u32_e32 v7, vcc, 0, v15, vcc
	global_load_dwordx2 v[90:91], v[6:7], off offset:2048
.LBB3_95:
	s_or_b64 exec, exec, s[0:1]
	v_or_b32_e32 v1, 0x2c00, v0
	v_cmp_gt_u32_e64 s[2:3], s33, v1
                                        ; implicit-def: $vgpr92_vgpr93
	s_mov_b64 s[0:1], exec
	v_writelane_b32 v254, s2, 32
	v_writelane_b32 v254, s3, 33
	s_and_b64 s[2:3], s[0:1], s[2:3]
	s_mov_b64 exec, s[2:3]
	s_cbranch_execz .LBB3_97
; %bb.96:
	v_add_co_u32_e32 v6, vcc, 0x16000, v14
	v_addc_co_u32_e32 v7, vcc, 0, v15, vcc
	global_load_dwordx2 v[92:93], v[6:7], off
.LBB3_97:
	s_or_b64 exec, exec, s[0:1]
	v_or_b32_e32 v1, 0x2d00, v0
	v_cmp_gt_u32_e64 s[2:3], s33, v1
                                        ; implicit-def: $vgpr94_vgpr95
	s_mov_b64 s[0:1], exec
	v_writelane_b32 v254, s2, 34
	v_writelane_b32 v254, s3, 35
	s_and_b64 s[2:3], s[0:1], s[2:3]
	s_mov_b64 exec, s[2:3]
	s_cbranch_execz .LBB3_99
; %bb.98:
	v_add_co_u32_e32 v6, vcc, 0x16000, v14
	v_addc_co_u32_e32 v7, vcc, 0, v15, vcc
	global_load_dwordx2 v[94:95], v[6:7], off offset:2048
.LBB3_99:
	s_or_b64 exec, exec, s[0:1]
	v_or_b32_e32 v1, 0x2e00, v0
	v_cmp_gt_u32_e64 s[2:3], s33, v1
                                        ; implicit-def: $vgpr96_vgpr97
	s_mov_b64 s[0:1], exec
	v_writelane_b32 v254, s2, 36
	v_writelane_b32 v254, s3, 37
	s_and_b64 s[2:3], s[0:1], s[2:3]
	s_mov_b64 exec, s[2:3]
	s_cbranch_execz .LBB3_101
; %bb.100:
	v_add_co_u32_e32 v6, vcc, 0x17000, v14
	v_addc_co_u32_e32 v7, vcc, 0, v15, vcc
	global_load_dwordx2 v[96:97], v[6:7], off
.LBB3_101:
	s_or_b64 exec, exec, s[0:1]
	v_or_b32_e32 v1, 0x2f00, v0
	v_cmp_gt_u32_e64 s[2:3], s33, v1
                                        ; implicit-def: $vgpr98_vgpr99
	s_mov_b64 s[0:1], exec
	v_writelane_b32 v254, s2, 38
	v_writelane_b32 v254, s3, 39
	s_and_b64 s[2:3], s[0:1], s[2:3]
	s_mov_b64 exec, s[2:3]
	s_cbranch_execz .LBB3_103
; %bb.102:
	v_add_co_u32_e32 v6, vcc, 0x17000, v14
	v_addc_co_u32_e32 v7, vcc, 0, v15, vcc
	global_load_dwordx2 v[98:99], v[6:7], off offset:2048
.LBB3_103:
	s_or_b64 exec, exec, s[0:1]
	v_or_b32_e32 v1, 0x3000, v0
	v_cmp_gt_u32_e64 s[2:3], s33, v1
                                        ; implicit-def: $vgpr100_vgpr101
	s_mov_b64 s[0:1], exec
	v_writelane_b32 v254, s2, 40
	v_writelane_b32 v254, s3, 41
	s_and_b64 s[2:3], s[0:1], s[2:3]
	s_mov_b64 exec, s[2:3]
	s_cbranch_execz .LBB3_105
; %bb.104:
	v_add_co_u32_e32 v6, vcc, 0x18000, v14
	v_addc_co_u32_e32 v7, vcc, 0, v15, vcc
	global_load_dwordx2 v[100:101], v[6:7], off
.LBB3_105:
	s_or_b64 exec, exec, s[0:1]
	v_or_b32_e32 v1, 0x3100, v0
	v_cmp_gt_u32_e64 s[2:3], s33, v1
                                        ; implicit-def: $vgpr102_vgpr103
	s_mov_b64 s[0:1], exec
	v_writelane_b32 v254, s2, 42
	v_writelane_b32 v254, s3, 43
	s_and_b64 s[2:3], s[0:1], s[2:3]
	s_mov_b64 exec, s[2:3]
	s_cbranch_execz .LBB3_107
; %bb.106:
	v_add_co_u32_e32 v6, vcc, 0x18000, v14
	v_addc_co_u32_e32 v7, vcc, 0, v15, vcc
	global_load_dwordx2 v[102:103], v[6:7], off offset:2048
.LBB3_107:
	s_or_b64 exec, exec, s[0:1]
	v_or_b32_e32 v1, 0x3200, v0
	v_cmp_gt_u32_e64 s[2:3], s33, v1
                                        ; implicit-def: $vgpr104_vgpr105
	s_mov_b64 s[0:1], exec
	v_writelane_b32 v254, s2, 44
	v_writelane_b32 v254, s3, 45
	s_and_b64 s[2:3], s[0:1], s[2:3]
	s_mov_b64 exec, s[2:3]
	s_cbranch_execz .LBB3_109
; %bb.108:
	v_add_co_u32_e32 v6, vcc, 0x19000, v14
	v_addc_co_u32_e32 v7, vcc, 0, v15, vcc
	global_load_dwordx2 v[104:105], v[6:7], off
.LBB3_109:
	s_or_b64 exec, exec, s[0:1]
	v_or_b32_e32 v1, 0x3300, v0
	v_cmp_gt_u32_e64 s[2:3], s33, v1
                                        ; implicit-def: $vgpr106_vgpr107
	s_mov_b64 s[0:1], exec
	v_writelane_b32 v254, s2, 46
	v_writelane_b32 v254, s3, 47
	s_and_b64 s[2:3], s[0:1], s[2:3]
	s_mov_b64 exec, s[2:3]
	s_cbranch_execz .LBB3_111
; %bb.110:
	v_add_co_u32_e32 v6, vcc, 0x19000, v14
	v_addc_co_u32_e32 v7, vcc, 0, v15, vcc
	global_load_dwordx2 v[106:107], v[6:7], off offset:2048
.LBB3_111:
	s_or_b64 exec, exec, s[0:1]
	v_or_b32_e32 v1, 0x3400, v0
	v_cmp_gt_u32_e64 s[2:3], s33, v1
                                        ; implicit-def: $vgpr108_vgpr109
	s_mov_b64 s[0:1], exec
	v_writelane_b32 v254, s2, 48
	v_writelane_b32 v254, s3, 49
	s_and_b64 s[2:3], s[0:1], s[2:3]
	s_mov_b64 exec, s[2:3]
	s_cbranch_execz .LBB3_113
; %bb.112:
	v_add_co_u32_e32 v6, vcc, 0x1a000, v14
	v_addc_co_u32_e32 v7, vcc, 0, v15, vcc
	global_load_dwordx2 v[108:109], v[6:7], off
.LBB3_113:
	s_or_b64 exec, exec, s[0:1]
	v_or_b32_e32 v1, 0x3500, v0
	v_cmp_gt_u32_e64 s[2:3], s33, v1
                                        ; implicit-def: $vgpr110_vgpr111
	s_mov_b64 s[0:1], exec
	v_writelane_b32 v254, s2, 50
	v_writelane_b32 v254, s3, 51
	s_and_b64 s[2:3], s[0:1], s[2:3]
	s_mov_b64 exec, s[2:3]
	s_cbranch_execz .LBB3_115
; %bb.114:
	v_add_co_u32_e32 v6, vcc, 0x1a000, v14
	v_addc_co_u32_e32 v7, vcc, 0, v15, vcc
	global_load_dwordx2 v[110:111], v[6:7], off offset:2048
.LBB3_115:
	s_or_b64 exec, exec, s[0:1]
	v_or_b32_e32 v1, 0x3600, v0
	v_cmp_gt_u32_e64 s[2:3], s33, v1
                                        ; implicit-def: $vgpr112_vgpr113
	s_mov_b64 s[0:1], exec
	v_writelane_b32 v254, s2, 52
	v_writelane_b32 v254, s3, 53
	s_and_b64 s[2:3], s[0:1], s[2:3]
	s_mov_b64 exec, s[2:3]
	s_cbranch_execz .LBB3_117
; %bb.116:
	v_add_co_u32_e32 v6, vcc, 0x1b000, v14
	v_addc_co_u32_e32 v7, vcc, 0, v15, vcc
	global_load_dwordx2 v[112:113], v[6:7], off
.LBB3_117:
	s_or_b64 exec, exec, s[0:1]
	v_or_b32_e32 v1, 0x3700, v0
	v_cmp_gt_u32_e64 s[2:3], s33, v1
                                        ; implicit-def: $vgpr114_vgpr115
	s_mov_b64 s[0:1], exec
	v_writelane_b32 v254, s2, 54
	v_writelane_b32 v254, s3, 55
	s_and_b64 s[2:3], s[0:1], s[2:3]
	s_mov_b64 exec, s[2:3]
	s_cbranch_execz .LBB3_119
; %bb.118:
	v_add_co_u32_e32 v6, vcc, 0x1b000, v14
	v_addc_co_u32_e32 v7, vcc, 0, v15, vcc
	global_load_dwordx2 v[114:115], v[6:7], off offset:2048
.LBB3_119:
	s_or_b64 exec, exec, s[0:1]
	v_or_b32_e32 v1, 0x3800, v0
	v_cmp_gt_u32_e64 s[2:3], s33, v1
                                        ; implicit-def: $vgpr116_vgpr117
	s_mov_b64 s[0:1], exec
	v_writelane_b32 v254, s2, 56
	v_writelane_b32 v254, s3, 57
	s_and_b64 s[2:3], s[0:1], s[2:3]
	s_mov_b64 exec, s[2:3]
	s_cbranch_execz .LBB3_121
; %bb.120:
	v_add_co_u32_e32 v6, vcc, 0x1c000, v14
	v_addc_co_u32_e32 v7, vcc, 0, v15, vcc
	global_load_dwordx2 v[116:117], v[6:7], off
.LBB3_121:
	s_or_b64 exec, exec, s[0:1]
	v_or_b32_e32 v1, 0x3900, v0
	v_cmp_gt_u32_e64 s[2:3], s33, v1
                                        ; implicit-def: $vgpr118_vgpr119
	s_mov_b64 s[0:1], exec
	v_writelane_b32 v254, s2, 58
	v_writelane_b32 v254, s3, 59
	s_and_b64 s[2:3], s[0:1], s[2:3]
	s_mov_b64 exec, s[2:3]
	s_cbranch_execz .LBB3_123
; %bb.122:
	v_add_co_u32_e32 v6, vcc, 0x1c000, v14
	v_addc_co_u32_e32 v7, vcc, 0, v15, vcc
	global_load_dwordx2 v[118:119], v[6:7], off offset:2048
.LBB3_123:
	s_or_b64 exec, exec, s[0:1]
	v_or_b32_e32 v1, 0x3a00, v0
	v_cmp_gt_u32_e64 s[2:3], s33, v1
                                        ; implicit-def: $vgpr120_vgpr121
	s_mov_b64 s[0:1], exec
	v_writelane_b32 v254, s2, 60
	v_writelane_b32 v254, s3, 61
	s_and_b64 s[2:3], s[0:1], s[2:3]
	s_mov_b64 exec, s[2:3]
	s_cbranch_execz .LBB3_125
; %bb.124:
	v_add_co_u32_e32 v6, vcc, 0x1d000, v14
	v_addc_co_u32_e32 v7, vcc, 0, v15, vcc
	global_load_dwordx2 v[120:121], v[6:7], off
.LBB3_125:
	s_or_b64 exec, exec, s[0:1]
	v_or_b32_e32 v1, 0x3b00, v0
	v_cmp_gt_u32_e64 s[2:3], s33, v1
                                        ; implicit-def: $vgpr122_vgpr123
	s_mov_b64 s[0:1], exec
	v_writelane_b32 v254, s2, 62
	v_writelane_b32 v254, s3, 63
	s_and_b64 s[2:3], s[0:1], s[2:3]
	s_mov_b64 exec, s[2:3]
	s_cbranch_execz .LBB3_127
; %bb.126:
	v_add_co_u32_e32 v6, vcc, 0x1d000, v14
	v_addc_co_u32_e32 v7, vcc, 0, v15, vcc
	global_load_dwordx2 v[122:123], v[6:7], off offset:2048
.LBB3_127:
	s_or_b64 exec, exec, s[0:1]
	v_or_b32_e32 v1, 0x3c00, v0
	v_cmp_gt_u32_e64 s[2:3], s33, v1
                                        ; implicit-def: $vgpr124_vgpr125
	s_mov_b64 s[0:1], exec
                                        ; implicit-def: $vgpr252 : SGPR spill to VGPR lane
	v_writelane_b32 v252, s2, 0
	v_writelane_b32 v252, s3, 1
	s_and_b64 s[2:3], s[0:1], s[2:3]
	s_mov_b64 exec, s[2:3]
	s_cbranch_execz .LBB3_129
; %bb.128:
	v_add_co_u32_e32 v6, vcc, 0x1e000, v14
	v_addc_co_u32_e32 v7, vcc, 0, v15, vcc
	global_load_dwordx2 v[124:125], v[6:7], off
.LBB3_129:
	s_or_b64 exec, exec, s[0:1]
	v_or_b32_e32 v1, 0x3d00, v0
	v_cmp_gt_u32_e64 s[2:3], s33, v1
                                        ; implicit-def: $vgpr126_vgpr127
	s_mov_b64 s[0:1], exec
	v_writelane_b32 v252, s2, 2
	v_writelane_b32 v252, s3, 3
	s_and_b64 s[2:3], s[0:1], s[2:3]
	s_mov_b64 exec, s[2:3]
	s_cbranch_execz .LBB3_131
; %bb.130:
	v_add_co_u32_e32 v6, vcc, 0x1e000, v14
	v_addc_co_u32_e32 v7, vcc, 0, v15, vcc
	global_load_dwordx2 v[126:127], v[6:7], off offset:2048
.LBB3_131:
	s_or_b64 exec, exec, s[0:1]
	v_or_b32_e32 v1, 0x3e00, v0
	v_cmp_gt_u32_e64 s[2:3], s33, v1
                                        ; implicit-def: $vgpr128_vgpr129
	s_mov_b64 s[0:1], exec
	v_writelane_b32 v252, s2, 4
	v_writelane_b32 v252, s3, 5
	s_and_b64 s[2:3], s[0:1], s[2:3]
	s_mov_b64 exec, s[2:3]
	s_cbranch_execz .LBB3_133
; %bb.132:
	v_add_co_u32_e32 v6, vcc, 0x1f000, v14
	v_addc_co_u32_e32 v7, vcc, 0, v15, vcc
	global_load_dwordx2 v[128:129], v[6:7], off
.LBB3_133:
	s_or_b64 exec, exec, s[0:1]
	v_or_b32_e32 v1, 0x3f00, v0
	v_cmp_gt_u32_e64 s[2:3], s33, v1
                                        ; implicit-def: $vgpr130_vgpr131
	s_mov_b64 s[0:1], exec
	v_writelane_b32 v252, s2, 6
	v_writelane_b32 v252, s3, 7
	s_and_b64 s[2:3], s[0:1], s[2:3]
	s_mov_b64 exec, s[2:3]
	s_cbranch_execz .LBB3_135
; %bb.134:
	v_add_co_u32_e32 v6, vcc, 0x1f000, v14
	v_addc_co_u32_e32 v7, vcc, 0, v15, vcc
	global_load_dwordx2 v[130:131], v[6:7], off offset:2048
.LBB3_135:
	s_or_b64 exec, exec, s[0:1]
	v_or_b32_e32 v1, 0x4000, v0
	v_cmp_gt_u32_e64 s[2:3], s33, v1
                                        ; implicit-def: $vgpr132_vgpr133
	s_mov_b64 s[0:1], exec
	v_writelane_b32 v252, s2, 8
	v_writelane_b32 v252, s3, 9
	s_and_b64 s[2:3], s[0:1], s[2:3]
	s_mov_b64 exec, s[2:3]
	s_cbranch_execz .LBB3_137
; %bb.136:
	v_add_co_u32_e32 v6, vcc, 0x20000, v14
	v_addc_co_u32_e32 v7, vcc, 0, v15, vcc
	global_load_dwordx2 v[132:133], v[6:7], off
.LBB3_137:
	s_or_b64 exec, exec, s[0:1]
	v_or_b32_e32 v1, 0x4100, v0
	v_cmp_gt_u32_e64 s[2:3], s33, v1
                                        ; implicit-def: $vgpr134_vgpr135
	s_mov_b64 s[0:1], exec
	v_writelane_b32 v252, s2, 10
	v_writelane_b32 v252, s3, 11
	s_and_b64 s[2:3], s[0:1], s[2:3]
	s_mov_b64 exec, s[2:3]
	s_cbranch_execz .LBB3_139
; %bb.138:
	v_add_co_u32_e32 v6, vcc, 0x20000, v14
	v_addc_co_u32_e32 v7, vcc, 0, v15, vcc
	global_load_dwordx2 v[134:135], v[6:7], off offset:2048
.LBB3_139:
	s_or_b64 exec, exec, s[0:1]
	v_or_b32_e32 v1, 0x4200, v0
	v_cmp_gt_u32_e64 s[2:3], s33, v1
                                        ; implicit-def: $vgpr136_vgpr137
	s_mov_b64 s[0:1], exec
	v_writelane_b32 v252, s2, 12
	v_writelane_b32 v252, s3, 13
	s_and_b64 s[2:3], s[0:1], s[2:3]
	s_mov_b64 exec, s[2:3]
	s_cbranch_execz .LBB3_141
; %bb.140:
	v_add_co_u32_e32 v6, vcc, 0x21000, v14
	v_addc_co_u32_e32 v7, vcc, 0, v15, vcc
	global_load_dwordx2 v[136:137], v[6:7], off
.LBB3_141:
	s_or_b64 exec, exec, s[0:1]
	v_or_b32_e32 v1, 0x4300, v0
	v_cmp_gt_u32_e64 s[2:3], s33, v1
                                        ; implicit-def: $vgpr138_vgpr139
	s_mov_b64 s[0:1], exec
	v_writelane_b32 v252, s2, 14
	v_writelane_b32 v252, s3, 15
	s_and_b64 s[2:3], s[0:1], s[2:3]
	s_mov_b64 exec, s[2:3]
	s_cbranch_execz .LBB3_143
; %bb.142:
	v_add_co_u32_e32 v6, vcc, 0x21000, v14
	v_addc_co_u32_e32 v7, vcc, 0, v15, vcc
	global_load_dwordx2 v[138:139], v[6:7], off offset:2048
.LBB3_143:
	s_or_b64 exec, exec, s[0:1]
	v_or_b32_e32 v1, 0x4400, v0
	v_cmp_gt_u32_e64 s[2:3], s33, v1
                                        ; implicit-def: $vgpr140_vgpr141
	s_mov_b64 s[0:1], exec
	v_writelane_b32 v252, s2, 16
	v_writelane_b32 v252, s3, 17
	s_and_b64 s[2:3], s[0:1], s[2:3]
	s_mov_b64 exec, s[2:3]
	s_cbranch_execz .LBB3_145
; %bb.144:
	v_add_co_u32_e32 v6, vcc, 0x22000, v14
	v_addc_co_u32_e32 v7, vcc, 0, v15, vcc
	global_load_dwordx2 v[140:141], v[6:7], off
.LBB3_145:
	s_or_b64 exec, exec, s[0:1]
	v_or_b32_e32 v1, 0x4500, v0
	v_cmp_gt_u32_e64 s[2:3], s33, v1
                                        ; implicit-def: $vgpr142_vgpr143
	s_mov_b64 s[0:1], exec
	v_writelane_b32 v252, s2, 18
	v_writelane_b32 v252, s3, 19
	s_and_b64 s[2:3], s[0:1], s[2:3]
	s_mov_b64 exec, s[2:3]
	s_cbranch_execz .LBB3_147
; %bb.146:
	v_add_co_u32_e32 v6, vcc, 0x22000, v14
	v_addc_co_u32_e32 v7, vcc, 0, v15, vcc
	global_load_dwordx2 v[142:143], v[6:7], off offset:2048
.LBB3_147:
	s_or_b64 exec, exec, s[0:1]
	v_or_b32_e32 v1, 0x4600, v0
	v_cmp_gt_u32_e64 s[2:3], s33, v1
                                        ; implicit-def: $vgpr144_vgpr145
	s_mov_b64 s[0:1], exec
	v_writelane_b32 v252, s2, 20
	v_writelane_b32 v252, s3, 21
	s_and_b64 s[2:3], s[0:1], s[2:3]
	s_mov_b64 exec, s[2:3]
	s_cbranch_execz .LBB3_149
; %bb.148:
	v_add_co_u32_e32 v6, vcc, 0x23000, v14
	v_addc_co_u32_e32 v7, vcc, 0, v15, vcc
	global_load_dwordx2 v[144:145], v[6:7], off
.LBB3_149:
	s_or_b64 exec, exec, s[0:1]
	v_or_b32_e32 v1, 0x4700, v0
	v_cmp_gt_u32_e64 s[2:3], s33, v1
                                        ; implicit-def: $vgpr146_vgpr147
	s_mov_b64 s[0:1], exec
	v_writelane_b32 v252, s2, 22
	v_writelane_b32 v252, s3, 23
	s_and_b64 s[2:3], s[0:1], s[2:3]
	s_mov_b64 exec, s[2:3]
	s_cbranch_execz .LBB3_151
; %bb.150:
	v_add_co_u32_e32 v6, vcc, 0x23000, v14
	v_addc_co_u32_e32 v7, vcc, 0, v15, vcc
	global_load_dwordx2 v[146:147], v[6:7], off offset:2048
.LBB3_151:
	s_or_b64 exec, exec, s[0:1]
	v_or_b32_e32 v1, 0x4800, v0
	v_cmp_gt_u32_e64 s[2:3], s33, v1
                                        ; implicit-def: $vgpr148_vgpr149
	s_mov_b64 s[0:1], exec
	v_writelane_b32 v252, s2, 24
	v_writelane_b32 v252, s3, 25
	s_and_b64 s[2:3], s[0:1], s[2:3]
	s_mov_b64 exec, s[2:3]
	s_cbranch_execz .LBB3_153
; %bb.152:
	v_add_co_u32_e32 v6, vcc, 0x24000, v14
	v_addc_co_u32_e32 v7, vcc, 0, v15, vcc
	global_load_dwordx2 v[148:149], v[6:7], off
.LBB3_153:
	s_or_b64 exec, exec, s[0:1]
	v_or_b32_e32 v1, 0x4900, v0
	v_cmp_gt_u32_e64 s[2:3], s33, v1
                                        ; implicit-def: $vgpr150_vgpr151
	s_mov_b64 s[0:1], exec
	v_writelane_b32 v252, s2, 26
	v_writelane_b32 v252, s3, 27
	s_and_b64 s[2:3], s[0:1], s[2:3]
	s_mov_b64 exec, s[2:3]
	s_cbranch_execz .LBB3_155
; %bb.154:
	v_add_co_u32_e32 v6, vcc, 0x24000, v14
	v_addc_co_u32_e32 v7, vcc, 0, v15, vcc
	global_load_dwordx2 v[150:151], v[6:7], off offset:2048
.LBB3_155:
	s_or_b64 exec, exec, s[0:1]
	v_or_b32_e32 v1, 0x4a00, v0
	v_cmp_gt_u32_e64 s[2:3], s33, v1
                                        ; implicit-def: $vgpr152_vgpr153
	s_mov_b64 s[0:1], exec
	v_writelane_b32 v252, s2, 28
	v_writelane_b32 v252, s3, 29
	s_and_b64 s[2:3], s[0:1], s[2:3]
	s_mov_b64 exec, s[2:3]
	s_cbranch_execz .LBB3_157
; %bb.156:
	v_add_co_u32_e32 v6, vcc, 0x25000, v14
	v_addc_co_u32_e32 v7, vcc, 0, v15, vcc
	global_load_dwordx2 v[152:153], v[6:7], off
.LBB3_157:
	s_or_b64 exec, exec, s[0:1]
	v_or_b32_e32 v1, 0x4b00, v0
	v_cmp_gt_u32_e64 s[2:3], s33, v1
                                        ; implicit-def: $vgpr154_vgpr155
	s_mov_b64 s[0:1], exec
	v_writelane_b32 v252, s2, 30
	v_writelane_b32 v252, s3, 31
	s_and_b64 s[2:3], s[0:1], s[2:3]
	s_mov_b64 exec, s[2:3]
	s_cbranch_execz .LBB3_159
; %bb.158:
	v_add_co_u32_e32 v6, vcc, 0x25000, v14
	v_addc_co_u32_e32 v7, vcc, 0, v15, vcc
	global_load_dwordx2 v[154:155], v[6:7], off offset:2048
.LBB3_159:
	s_or_b64 exec, exec, s[0:1]
	v_or_b32_e32 v1, 0x4c00, v0
	v_cmp_gt_u32_e64 s[2:3], s33, v1
                                        ; implicit-def: $vgpr156_vgpr157
	s_mov_b64 s[0:1], exec
	v_writelane_b32 v252, s2, 32
	v_writelane_b32 v252, s3, 33
	s_and_b64 s[2:3], s[0:1], s[2:3]
	s_mov_b64 exec, s[2:3]
	s_cbranch_execz .LBB3_161
; %bb.160:
	v_add_co_u32_e32 v6, vcc, 0x26000, v14
	v_addc_co_u32_e32 v7, vcc, 0, v15, vcc
	global_load_dwordx2 v[156:157], v[6:7], off
.LBB3_161:
	s_or_b64 exec, exec, s[0:1]
	v_or_b32_e32 v1, 0x4d00, v0
	v_cmp_gt_u32_e64 s[2:3], s33, v1
                                        ; implicit-def: $vgpr158_vgpr159
	s_mov_b64 s[0:1], exec
	v_writelane_b32 v252, s2, 34
	v_writelane_b32 v252, s3, 35
	s_and_b64 s[2:3], s[0:1], s[2:3]
	s_mov_b64 exec, s[2:3]
	s_cbranch_execz .LBB3_163
; %bb.162:
	v_add_co_u32_e32 v6, vcc, 0x26000, v14
	v_addc_co_u32_e32 v7, vcc, 0, v15, vcc
	global_load_dwordx2 v[158:159], v[6:7], off offset:2048
.LBB3_163:
	s_or_b64 exec, exec, s[0:1]
	v_or_b32_e32 v1, 0x4e00, v0
	v_cmp_gt_u32_e64 s[2:3], s33, v1
                                        ; implicit-def: $vgpr160_vgpr161
	s_mov_b64 s[0:1], exec
	v_writelane_b32 v252, s2, 36
	v_writelane_b32 v252, s3, 37
	s_and_b64 s[2:3], s[0:1], s[2:3]
	s_mov_b64 exec, s[2:3]
	s_cbranch_execz .LBB3_165
; %bb.164:
	v_add_co_u32_e32 v6, vcc, 0x27000, v14
	v_addc_co_u32_e32 v7, vcc, 0, v15, vcc
	global_load_dwordx2 v[160:161], v[6:7], off
.LBB3_165:
	s_or_b64 exec, exec, s[0:1]
	v_or_b32_e32 v1, 0x4f00, v0
	v_cmp_gt_u32_e64 s[2:3], s33, v1
                                        ; implicit-def: $vgpr162_vgpr163
	s_mov_b64 s[0:1], exec
	v_writelane_b32 v252, s2, 38
	v_writelane_b32 v252, s3, 39
	s_and_b64 s[2:3], s[0:1], s[2:3]
	s_mov_b64 exec, s[2:3]
	s_cbranch_execz .LBB3_167
; %bb.166:
	v_add_co_u32_e32 v6, vcc, 0x27000, v14
	v_addc_co_u32_e32 v7, vcc, 0, v15, vcc
	global_load_dwordx2 v[162:163], v[6:7], off offset:2048
.LBB3_167:
	s_or_b64 exec, exec, s[0:1]
	v_or_b32_e32 v1, 0x5000, v0
	v_cmp_gt_u32_e64 s[2:3], s33, v1
                                        ; implicit-def: $vgpr164_vgpr165
	s_mov_b64 s[0:1], exec
	v_writelane_b32 v252, s2, 40
	v_writelane_b32 v252, s3, 41
	s_and_b64 s[2:3], s[0:1], s[2:3]
	s_mov_b64 exec, s[2:3]
	s_cbranch_execz .LBB3_169
; %bb.168:
	v_add_co_u32_e32 v6, vcc, 0x28000, v14
	v_addc_co_u32_e32 v7, vcc, 0, v15, vcc
	global_load_dwordx2 v[164:165], v[6:7], off
.LBB3_169:
	s_or_b64 exec, exec, s[0:1]
	v_or_b32_e32 v1, 0x5100, v0
	v_cmp_gt_u32_e64 s[2:3], s33, v1
                                        ; implicit-def: $vgpr166_vgpr167
	s_mov_b64 s[0:1], exec
	v_writelane_b32 v252, s2, 42
	v_writelane_b32 v252, s3, 43
	s_and_b64 s[2:3], s[0:1], s[2:3]
	s_mov_b64 exec, s[2:3]
	s_cbranch_execz .LBB3_171
; %bb.170:
	v_add_co_u32_e32 v6, vcc, 0x28000, v14
	v_addc_co_u32_e32 v7, vcc, 0, v15, vcc
	global_load_dwordx2 v[166:167], v[6:7], off offset:2048
.LBB3_171:
	s_or_b64 exec, exec, s[0:1]
	v_or_b32_e32 v1, 0x5200, v0
	v_cmp_gt_u32_e64 s[74:75], s33, v1
                                        ; implicit-def: $vgpr168_vgpr169
	s_and_saveexec_b64 s[0:1], s[74:75]
	s_cbranch_execz .LBB3_173
; %bb.172:
	v_add_co_u32_e32 v6, vcc, 0x29000, v14
	v_addc_co_u32_e32 v7, vcc, 0, v15, vcc
	global_load_dwordx2 v[168:169], v[6:7], off
.LBB3_173:
	s_or_b64 exec, exec, s[0:1]
	v_or_b32_e32 v1, 0x5300, v0
	v_cmp_gt_u32_e64 s[76:77], s33, v1
                                        ; implicit-def: $vgpr170_vgpr171
	s_and_saveexec_b64 s[0:1], s[76:77]
	s_cbranch_execz .LBB3_175
; %bb.174:
	v_add_co_u32_e32 v6, vcc, 0x29000, v14
	v_addc_co_u32_e32 v7, vcc, 0, v15, vcc
	global_load_dwordx2 v[170:171], v[6:7], off offset:2048
.LBB3_175:
	s_or_b64 exec, exec, s[0:1]
	v_or_b32_e32 v1, 0x5400, v0
	v_cmp_gt_u32_e64 s[78:79], s33, v1
                                        ; implicit-def: $vgpr172_vgpr173
	s_and_saveexec_b64 s[0:1], s[78:79]
	s_cbranch_execz .LBB3_177
; %bb.176:
	v_add_co_u32_e32 v6, vcc, 0x2a000, v14
	v_addc_co_u32_e32 v7, vcc, 0, v15, vcc
	global_load_dwordx2 v[172:173], v[6:7], off
.LBB3_177:
	s_or_b64 exec, exec, s[0:1]
	v_or_b32_e32 v1, 0x5500, v0
	v_cmp_gt_u32_e64 s[80:81], s33, v1
                                        ; implicit-def: $vgpr174_vgpr175
	s_and_saveexec_b64 s[0:1], s[80:81]
	s_cbranch_execz .LBB3_179
; %bb.178:
	v_add_co_u32_e32 v6, vcc, 0x2a000, v14
	v_addc_co_u32_e32 v7, vcc, 0, v15, vcc
	global_load_dwordx2 v[174:175], v[6:7], off offset:2048
.LBB3_179:
	s_or_b64 exec, exec, s[0:1]
	v_or_b32_e32 v1, 0x5600, v0
	v_cmp_gt_u32_e64 s[82:83], s33, v1
                                        ; implicit-def: $vgpr176_vgpr177
	s_and_saveexec_b64 s[0:1], s[82:83]
	s_cbranch_execz .LBB3_181
; %bb.180:
	v_add_co_u32_e32 v6, vcc, 0x2b000, v14
	v_addc_co_u32_e32 v7, vcc, 0, v15, vcc
	global_load_dwordx2 v[176:177], v[6:7], off
.LBB3_181:
	s_or_b64 exec, exec, s[0:1]
	v_or_b32_e32 v1, 0x5700, v0
	v_cmp_gt_u32_e64 s[84:85], s33, v1
                                        ; implicit-def: $vgpr178_vgpr179
	s_and_saveexec_b64 s[0:1], s[84:85]
	s_cbranch_execz .LBB3_183
; %bb.182:
	v_add_co_u32_e32 v6, vcc, 0x2b000, v14
	v_addc_co_u32_e32 v7, vcc, 0, v15, vcc
	global_load_dwordx2 v[178:179], v[6:7], off offset:2048
.LBB3_183:
	s_or_b64 exec, exec, s[0:1]
	v_or_b32_e32 v1, 0x5800, v0
	v_cmp_gt_u32_e64 s[86:87], s33, v1
                                        ; implicit-def: $vgpr180_vgpr181
	s_and_saveexec_b64 s[0:1], s[86:87]
	s_cbranch_execz .LBB3_185
; %bb.184:
	v_add_co_u32_e32 v6, vcc, 0x2c000, v14
	v_addc_co_u32_e32 v7, vcc, 0, v15, vcc
	global_load_dwordx2 v[180:181], v[6:7], off
.LBB3_185:
	s_or_b64 exec, exec, s[0:1]
	v_or_b32_e32 v1, 0x5900, v0
	v_cmp_gt_u32_e64 s[88:89], s33, v1
                                        ; implicit-def: $vgpr182_vgpr183
	s_and_saveexec_b64 s[0:1], s[88:89]
	s_cbranch_execz .LBB3_187
; %bb.186:
	v_add_co_u32_e32 v6, vcc, 0x2c000, v14
	v_addc_co_u32_e32 v7, vcc, 0, v15, vcc
	global_load_dwordx2 v[182:183], v[6:7], off offset:2048
.LBB3_187:
	s_or_b64 exec, exec, s[0:1]
	v_or_b32_e32 v1, 0x5a00, v0
	v_cmp_gt_u32_e64 s[90:91], s33, v1
                                        ; implicit-def: $vgpr184_vgpr185
	s_and_saveexec_b64 s[0:1], s[90:91]
	s_cbranch_execz .LBB3_189
; %bb.188:
	v_add_co_u32_e32 v6, vcc, 0x2d000, v14
	v_addc_co_u32_e32 v7, vcc, 0, v15, vcc
	global_load_dwordx2 v[184:185], v[6:7], off
.LBB3_189:
	s_or_b64 exec, exec, s[0:1]
	v_or_b32_e32 v1, 0x5b00, v0
	v_cmp_gt_u32_e64 s[92:93], s33, v1
                                        ; implicit-def: $vgpr186_vgpr187
	s_and_saveexec_b64 s[0:1], s[92:93]
	s_cbranch_execz .LBB3_191
; %bb.190:
	v_add_co_u32_e32 v6, vcc, 0x2d000, v14
	v_addc_co_u32_e32 v7, vcc, 0, v15, vcc
	global_load_dwordx2 v[186:187], v[6:7], off offset:2048
.LBB3_191:
	s_or_b64 exec, exec, s[0:1]
	v_or_b32_e32 v1, 0x5c00, v0
	v_cmp_gt_u32_e64 s[94:95], s33, v1
                                        ; implicit-def: $vgpr188_vgpr189
	s_and_saveexec_b64 s[0:1], s[94:95]
	s_cbranch_execz .LBB3_193
; %bb.192:
	v_add_co_u32_e32 v6, vcc, 0x2e000, v14
	v_addc_co_u32_e32 v7, vcc, 0, v15, vcc
	global_load_dwordx2 v[188:189], v[6:7], off
.LBB3_193:
	s_or_b64 exec, exec, s[0:1]
	v_or_b32_e32 v1, 0x5d00, v0
	v_cmp_gt_u32_e64 s[0:1], s33, v1
                                        ; implicit-def: $vgpr190_vgpr191
	s_and_saveexec_b64 s[2:3], s[0:1]
	s_cbranch_execz .LBB3_195
; %bb.194:
	v_add_co_u32_e32 v6, vcc, 0x2e000, v14
	v_addc_co_u32_e32 v7, vcc, 0, v15, vcc
	global_load_dwordx2 v[190:191], v[6:7], off offset:2048
.LBB3_195:
	s_or_b64 exec, exec, s[2:3]
	v_or_b32_e32 v1, 0x5e00, v0
	v_cmp_gt_u32_e64 s[2:3], s33, v1
                                        ; implicit-def: $vgpr192_vgpr193
	s_and_saveexec_b64 s[4:5], s[2:3]
	s_cbranch_execz .LBB3_197
; %bb.196:
	v_add_co_u32_e32 v6, vcc, 0x2f000, v14
	v_addc_co_u32_e32 v7, vcc, 0, v15, vcc
	global_load_dwordx2 v[192:193], v[6:7], off
.LBB3_197:
	s_or_b64 exec, exec, s[4:5]
	v_or_b32_e32 v1, 0x5f00, v0
	v_cmp_gt_u32_e64 s[4:5], s33, v1
                                        ; implicit-def: $vgpr194_vgpr195
	s_and_saveexec_b64 s[6:7], s[4:5]
	s_cbranch_execz .LBB3_199
; %bb.198:
	v_add_co_u32_e32 v6, vcc, 0x2f000, v14
	v_addc_co_u32_e32 v7, vcc, 0, v15, vcc
	global_load_dwordx2 v[194:195], v[6:7], off offset:2048
.LBB3_199:
	s_or_b64 exec, exec, s[6:7]
	v_or_b32_e32 v1, 0x6000, v0
	v_cmp_gt_u32_e64 s[8:9], s33, v1
                                        ; implicit-def: $vgpr196_vgpr197
	s_and_saveexec_b64 s[6:7], s[8:9]
	s_cbranch_execz .LBB3_201
; %bb.200:
	v_add_co_u32_e32 v6, vcc, 0x30000, v14
	v_addc_co_u32_e32 v7, vcc, 0, v15, vcc
	global_load_dwordx2 v[196:197], v[6:7], off
.LBB3_201:
	s_or_b64 exec, exec, s[6:7]
	v_or_b32_e32 v1, 0x6100, v0
	v_cmp_gt_u32_e64 s[10:11], s33, v1
                                        ; implicit-def: $vgpr198_vgpr199
	s_and_saveexec_b64 s[6:7], s[10:11]
	s_cbranch_execz .LBB3_203
; %bb.202:
	v_add_co_u32_e32 v6, vcc, 0x30000, v14
	v_addc_co_u32_e32 v7, vcc, 0, v15, vcc
	global_load_dwordx2 v[198:199], v[6:7], off offset:2048
.LBB3_203:
	s_or_b64 exec, exec, s[6:7]
	v_or_b32_e32 v1, 0x6200, v0
	v_cmp_gt_u32_e64 s[12:13], s33, v1
                                        ; implicit-def: $vgpr200_vgpr201
	s_and_saveexec_b64 s[6:7], s[12:13]
	s_cbranch_execz .LBB3_205
; %bb.204:
	v_add_co_u32_e32 v6, vcc, 0x31000, v14
	v_addc_co_u32_e32 v7, vcc, 0, v15, vcc
	global_load_dwordx2 v[200:201], v[6:7], off
.LBB3_205:
	s_or_b64 exec, exec, s[6:7]
	v_or_b32_e32 v1, 0x6300, v0
	v_cmp_gt_u32_e64 s[14:15], s33, v1
                                        ; implicit-def: $vgpr202_vgpr203
	s_and_saveexec_b64 s[6:7], s[14:15]
	s_cbranch_execz .LBB3_207
; %bb.206:
	v_add_co_u32_e32 v6, vcc, 0x31000, v14
	v_addc_co_u32_e32 v7, vcc, 0, v15, vcc
	global_load_dwordx2 v[202:203], v[6:7], off offset:2048
.LBB3_207:
	s_or_b64 exec, exec, s[6:7]
	v_or_b32_e32 v1, 0x6400, v0
	v_cmp_gt_u32_e64 s[16:17], s33, v1
                                        ; implicit-def: $vgpr204_vgpr205
	s_and_saveexec_b64 s[6:7], s[16:17]
	s_cbranch_execz .LBB3_209
; %bb.208:
	v_add_co_u32_e32 v6, vcc, 0x32000, v14
	v_addc_co_u32_e32 v7, vcc, 0, v15, vcc
	global_load_dwordx2 v[204:205], v[6:7], off
.LBB3_209:
	s_or_b64 exec, exec, s[6:7]
	v_or_b32_e32 v1, 0x6500, v0
	v_cmp_gt_u32_e64 s[18:19], s33, v1
                                        ; implicit-def: $vgpr206_vgpr207
	s_and_saveexec_b64 s[6:7], s[18:19]
	s_cbranch_execz .LBB3_211
; %bb.210:
	v_add_co_u32_e32 v6, vcc, 0x32000, v14
	v_addc_co_u32_e32 v7, vcc, 0, v15, vcc
	global_load_dwordx2 v[206:207], v[6:7], off offset:2048
.LBB3_211:
	s_or_b64 exec, exec, s[6:7]
	v_or_b32_e32 v1, 0x6600, v0
	v_cmp_gt_u32_e64 s[20:21], s33, v1
                                        ; implicit-def: $vgpr208_vgpr209
	s_and_saveexec_b64 s[6:7], s[20:21]
	s_cbranch_execz .LBB3_213
; %bb.212:
	v_add_co_u32_e32 v6, vcc, 0x33000, v14
	v_addc_co_u32_e32 v7, vcc, 0, v15, vcc
	global_load_dwordx2 v[208:209], v[6:7], off
.LBB3_213:
	s_or_b64 exec, exec, s[6:7]
	v_or_b32_e32 v1, 0x6700, v0
	v_cmp_gt_u32_e64 s[22:23], s33, v1
                                        ; implicit-def: $vgpr210_vgpr211
	s_and_saveexec_b64 s[6:7], s[22:23]
	s_cbranch_execz .LBB3_215
; %bb.214:
	v_add_co_u32_e32 v6, vcc, 0x33000, v14
	v_addc_co_u32_e32 v7, vcc, 0, v15, vcc
	global_load_dwordx2 v[210:211], v[6:7], off offset:2048
.LBB3_215:
	s_or_b64 exec, exec, s[6:7]
	v_or_b32_e32 v1, 0x6800, v0
	v_cmp_gt_u32_e64 s[24:25], s33, v1
                                        ; implicit-def: $vgpr212_vgpr213
	s_and_saveexec_b64 s[6:7], s[24:25]
	s_cbranch_execz .LBB3_217
; %bb.216:
	v_add_co_u32_e32 v6, vcc, 0x34000, v14
	v_addc_co_u32_e32 v7, vcc, 0, v15, vcc
	global_load_dwordx2 v[212:213], v[6:7], off
.LBB3_217:
	s_or_b64 exec, exec, s[6:7]
	v_or_b32_e32 v1, 0x6900, v0
	v_cmp_gt_u32_e64 s[26:27], s33, v1
                                        ; implicit-def: $vgpr214_vgpr215
	s_and_saveexec_b64 s[6:7], s[26:27]
	s_cbranch_execz .LBB3_219
; %bb.218:
	v_add_co_u32_e32 v6, vcc, 0x34000, v14
	v_addc_co_u32_e32 v7, vcc, 0, v15, vcc
	global_load_dwordx2 v[214:215], v[6:7], off offset:2048
.LBB3_219:
	s_or_b64 exec, exec, s[6:7]
	v_or_b32_e32 v1, 0x6a00, v0
	v_cmp_gt_u32_e64 s[28:29], s33, v1
                                        ; implicit-def: $vgpr216_vgpr217
	s_and_saveexec_b64 s[6:7], s[28:29]
	s_cbranch_execz .LBB3_221
; %bb.220:
	v_add_co_u32_e32 v6, vcc, 0x35000, v14
	v_addc_co_u32_e32 v7, vcc, 0, v15, vcc
	global_load_dwordx2 v[216:217], v[6:7], off
.LBB3_221:
	s_or_b64 exec, exec, s[6:7]
	v_or_b32_e32 v1, 0x6b00, v0
	v_cmp_gt_u32_e64 s[30:31], s33, v1
                                        ; implicit-def: $vgpr218_vgpr219
	s_and_saveexec_b64 s[6:7], s[30:31]
	s_cbranch_execz .LBB3_223
; %bb.222:
	v_add_co_u32_e32 v6, vcc, 0x35000, v14
	v_addc_co_u32_e32 v7, vcc, 0, v15, vcc
	global_load_dwordx2 v[218:219], v[6:7], off offset:2048
.LBB3_223:
	s_or_b64 exec, exec, s[6:7]
	v_or_b32_e32 v1, 0x6c00, v0
	v_cmp_gt_u32_e64 s[34:35], s33, v1
                                        ; implicit-def: $vgpr220_vgpr221
	s_and_saveexec_b64 s[6:7], s[34:35]
	s_cbranch_execz .LBB3_225
; %bb.224:
	v_add_co_u32_e32 v6, vcc, 0x36000, v14
	v_addc_co_u32_e32 v7, vcc, 0, v15, vcc
	global_load_dwordx2 v[220:221], v[6:7], off
.LBB3_225:
	s_or_b64 exec, exec, s[6:7]
	v_or_b32_e32 v1, 0x6d00, v0
	v_cmp_gt_u32_e64 s[36:37], s33, v1
                                        ; implicit-def: $vgpr222_vgpr223
	s_and_saveexec_b64 s[6:7], s[36:37]
	s_cbranch_execz .LBB3_227
; %bb.226:
	v_add_co_u32_e32 v6, vcc, 0x36000, v14
	v_addc_co_u32_e32 v7, vcc, 0, v15, vcc
	global_load_dwordx2 v[222:223], v[6:7], off offset:2048
.LBB3_227:
	s_or_b64 exec, exec, s[6:7]
	v_or_b32_e32 v1, 0x6e00, v0
	v_cmp_gt_u32_e64 s[38:39], s33, v1
                                        ; implicit-def: $vgpr224_vgpr225
	s_and_saveexec_b64 s[6:7], s[38:39]
	s_cbranch_execz .LBB3_229
; %bb.228:
	v_add_co_u32_e32 v6, vcc, 0x37000, v14
	v_addc_co_u32_e32 v7, vcc, 0, v15, vcc
	global_load_dwordx2 v[224:225], v[6:7], off
.LBB3_229:
	s_or_b64 exec, exec, s[6:7]
	v_or_b32_e32 v1, 0x6f00, v0
	v_cmp_gt_u32_e64 s[40:41], s33, v1
                                        ; implicit-def: $vgpr226_vgpr227
	s_and_saveexec_b64 s[6:7], s[40:41]
	s_cbranch_execz .LBB3_231
; %bb.230:
	v_add_co_u32_e32 v6, vcc, 0x37000, v14
	v_addc_co_u32_e32 v7, vcc, 0, v15, vcc
	global_load_dwordx2 v[226:227], v[6:7], off offset:2048
.LBB3_231:
	s_or_b64 exec, exec, s[6:7]
	v_or_b32_e32 v1, 0x7000, v0
	v_cmp_gt_u32_e64 s[42:43], s33, v1
                                        ; implicit-def: $vgpr228_vgpr229
	s_and_saveexec_b64 s[6:7], s[42:43]
	s_cbranch_execz .LBB3_233
; %bb.232:
	v_add_co_u32_e32 v6, vcc, 0x38000, v14
	v_addc_co_u32_e32 v7, vcc, 0, v15, vcc
	global_load_dwordx2 v[228:229], v[6:7], off
.LBB3_233:
	s_or_b64 exec, exec, s[6:7]
	v_or_b32_e32 v1, 0x7100, v0
	v_cmp_gt_u32_e64 s[44:45], s33, v1
                                        ; implicit-def: $vgpr230_vgpr231
	s_and_saveexec_b64 s[6:7], s[44:45]
	s_cbranch_execz .LBB3_235
; %bb.234:
	v_add_co_u32_e32 v6, vcc, 0x38000, v14
	v_addc_co_u32_e32 v7, vcc, 0, v15, vcc
	global_load_dwordx2 v[230:231], v[6:7], off offset:2048
.LBB3_235:
	s_or_b64 exec, exec, s[6:7]
	v_or_b32_e32 v1, 0x7200, v0
	v_cmp_gt_u32_e64 s[46:47], s33, v1
                                        ; implicit-def: $vgpr232_vgpr233
	s_and_saveexec_b64 s[6:7], s[46:47]
	s_cbranch_execz .LBB3_237
; %bb.236:
	v_add_co_u32_e32 v6, vcc, 0x39000, v14
	v_addc_co_u32_e32 v7, vcc, 0, v15, vcc
	global_load_dwordx2 v[232:233], v[6:7], off
.LBB3_237:
	s_or_b64 exec, exec, s[6:7]
	v_or_b32_e32 v1, 0x7300, v0
	v_cmp_gt_u32_e64 s[48:49], s33, v1
                                        ; implicit-def: $vgpr234_vgpr235
	s_and_saveexec_b64 s[6:7], s[48:49]
	s_cbranch_execz .LBB3_239
; %bb.238:
	v_add_co_u32_e32 v6, vcc, 0x39000, v14
	v_addc_co_u32_e32 v7, vcc, 0, v15, vcc
	global_load_dwordx2 v[234:235], v[6:7], off offset:2048
.LBB3_239:
	s_or_b64 exec, exec, s[6:7]
	v_or_b32_e32 v1, 0x7400, v0
	v_cmp_gt_u32_e64 s[50:51], s33, v1
                                        ; implicit-def: $vgpr236_vgpr237
	s_and_saveexec_b64 s[6:7], s[50:51]
	s_cbranch_execz .LBB3_241
; %bb.240:
	v_add_co_u32_e32 v6, vcc, 0x3a000, v14
	v_addc_co_u32_e32 v7, vcc, 0, v15, vcc
	global_load_dwordx2 v[236:237], v[6:7], off
.LBB3_241:
	s_or_b64 exec, exec, s[6:7]
	v_or_b32_e32 v1, 0x7500, v0
	v_cmp_gt_u32_e64 s[52:53], s33, v1
                                        ; implicit-def: $vgpr238_vgpr239
	s_and_saveexec_b64 s[6:7], s[52:53]
	s_cbranch_execz .LBB3_243
; %bb.242:
	v_add_co_u32_e32 v6, vcc, 0x3a000, v14
	v_addc_co_u32_e32 v7, vcc, 0, v15, vcc
	global_load_dwordx2 v[238:239], v[6:7], off offset:2048
.LBB3_243:
	s_or_b64 exec, exec, s[6:7]
	v_or_b32_e32 v1, 0x7600, v0
	v_cmp_gt_u32_e64 s[54:55], s33, v1
                                        ; implicit-def: $vgpr240_vgpr241
	s_and_saveexec_b64 s[6:7], s[54:55]
	s_cbranch_execz .LBB3_245
; %bb.244:
	v_add_co_u32_e32 v6, vcc, 0x3b000, v14
	v_addc_co_u32_e32 v7, vcc, 0, v15, vcc
	global_load_dwordx2 v[240:241], v[6:7], off
.LBB3_245:
	s_or_b64 exec, exec, s[6:7]
	v_or_b32_e32 v1, 0x7700, v0
	v_cmp_gt_u32_e64 s[6:7], s33, v1
                                        ; implicit-def: $vgpr242_vgpr243
	s_and_saveexec_b64 s[56:57], s[6:7]
	s_cbranch_execz .LBB3_247
; %bb.246:
	v_add_co_u32_e32 v6, vcc, 0x3b000, v14
	v_addc_co_u32_e32 v7, vcc, 0, v15, vcc
	global_load_dwordx2 v[242:243], v[6:7], off offset:2048
.LBB3_247:
	s_or_b64 exec, exec, s[56:57]
	v_or_b32_e32 v1, 0x7800, v0
	v_cmp_gt_u32_e64 s[56:57], s33, v1
                                        ; implicit-def: $vgpr244_vgpr245
	s_and_saveexec_b64 s[58:59], s[56:57]
	s_cbranch_execz .LBB3_249
; %bb.248:
	v_add_co_u32_e32 v6, vcc, 0x3c000, v14
	v_addc_co_u32_e32 v7, vcc, 0, v15, vcc
	global_load_dwordx2 v[244:245], v[6:7], off
.LBB3_249:
	s_or_b64 exec, exec, s[58:59]
	v_or_b32_e32 v1, 0x7900, v0
	v_cmp_gt_u32_e64 s[58:59], s33, v1
                                        ; implicit-def: $vgpr246_vgpr247
	s_and_saveexec_b64 s[60:61], s[58:59]
	s_cbranch_execz .LBB3_251
; %bb.250:
	v_add_co_u32_e32 v6, vcc, 0x3c000, v14
	v_addc_co_u32_e32 v7, vcc, 0, v15, vcc
	global_load_dwordx2 v[246:247], v[6:7], off offset:2048
.LBB3_251:
	s_or_b64 exec, exec, s[60:61]
	v_or_b32_e32 v1, 0x7a00, v0
	v_cmp_gt_u32_e64 s[60:61], s33, v1
                                        ; implicit-def: $vgpr248_vgpr249
	s_and_saveexec_b64 s[62:63], s[60:61]
	s_cbranch_execz .LBB3_253
; %bb.252:
	v_add_co_u32_e32 v6, vcc, 0x3d000, v14
	v_addc_co_u32_e32 v7, vcc, 0, v15, vcc
	global_load_dwordx2 v[248:249], v[6:7], off
.LBB3_253:
	s_or_b64 exec, exec, s[62:63]
	v_or_b32_e32 v1, 0x7b00, v0
	v_cmp_gt_u32_e64 s[62:63], s33, v1
                                        ; implicit-def: $vgpr250_vgpr251
	s_and_saveexec_b64 s[64:65], s[62:63]
	s_cbranch_execz .LBB3_255
; %bb.254:
	v_add_co_u32_e32 v6, vcc, 0x3d000, v14
	v_addc_co_u32_e32 v7, vcc, 0, v15, vcc
	global_load_dwordx2 v[250:251], v[6:7], off offset:2048
.LBB3_255:
	s_or_b64 exec, exec, s[64:65]
	v_or_b32_e32 v1, 0x7c00, v0
	v_cmp_gt_u32_e64 s[64:65], s33, v1
                                        ; implicit-def: $vgpr6_vgpr7
	s_and_saveexec_b64 s[66:67], s[64:65]
	s_cbranch_execz .LBB3_257
; %bb.256:
	v_add_co_u32_e32 v6, vcc, 0x3e000, v14
	v_addc_co_u32_e32 v7, vcc, 0, v15, vcc
	global_load_dwordx2 v[6:7], v[6:7], off
.LBB3_257:
	s_or_b64 exec, exec, s[66:67]
	v_or_b32_e32 v1, 0x7d00, v0
	v_cmp_gt_u32_e64 s[66:67], s33, v1
                                        ; implicit-def: $vgpr8_vgpr9
	s_and_saveexec_b64 s[68:69], s[66:67]
	s_cbranch_execz .LBB3_259
; %bb.258:
	v_add_co_u32_e32 v8, vcc, 0x3e000, v14
	v_addc_co_u32_e32 v9, vcc, 0, v15, vcc
	global_load_dwordx2 v[8:9], v[8:9], off offset:2048
.LBB3_259:
	s_or_b64 exec, exec, s[68:69]
	v_or_b32_e32 v1, 0x7e00, v0
	v_cmp_gt_u32_e64 s[68:69], s33, v1
                                        ; implicit-def: $vgpr10_vgpr11
	s_and_saveexec_b64 s[70:71], s[68:69]
	s_cbranch_execz .LBB3_261
; %bb.260:
	v_add_co_u32_e32 v10, vcc, 0x3f000, v14
	v_addc_co_u32_e32 v11, vcc, 0, v15, vcc
	global_load_dwordx2 v[10:11], v[10:11], off
.LBB3_261:
	s_or_b64 exec, exec, s[70:71]
	v_or_b32_e32 v1, 0x7f00, v0
	v_cmp_gt_u32_e64 s[70:71], s33, v1
                                        ; implicit-def: $vgpr12_vgpr13
	s_and_saveexec_b64 s[72:73], s[70:71]
	s_cbranch_execz .LBB3_263
; %bb.262:
	s_waitcnt vmcnt(0)
	v_accvgpr_write_b32 a0, v2
	v_accvgpr_write_b32 a1, v3
	v_add_co_u32_e32 v2, vcc, 0x3f000, v14
	v_addc_co_u32_e32 v3, vcc, 0, v15, vcc
	global_load_dwordx2 v[12:13], v[2:3], off offset:2048
	v_accvgpr_read_b32 v3, a1
	v_accvgpr_read_b32 v2, a0
.LBB3_263:
	s_or_b64 exec, exec, s[72:73]
	v_readlane_b32 s72, v253, 10
	s_waitcnt vmcnt(0)
	v_add_f64 v[2:3], v[4:5], v[2:3]
	v_readlane_b32 s73, v253, 11
	v_cndmask_b32_e64 v3, v5, v3, s[72:73]
	v_cndmask_b32_e64 v2, v4, v2, s[72:73]
	v_accvgpr_read_b32 v5, a3
	v_accvgpr_read_b32 v4, a2
	v_readlane_b32 s72, v253, 12
	v_add_f64 v[4:5], v[2:3], v[4:5]
	v_readlane_b32 s73, v253, 13
	v_cndmask_b32_e64 v3, v3, v5, s[72:73]
	v_cndmask_b32_e64 v2, v2, v4, s[72:73]
	v_accvgpr_read_b32 v4, a4
	v_accvgpr_read_b32 v5, a5
	v_readlane_b32 s72, v253, 14
	;; [unrolled: 7-line block ×4, first 2 shown]
	v_add_f64 v[4:5], v[2:3], v[4:5]
	v_readlane_b32 s73, v253, 19
	v_cndmask_b32_e64 v3, v3, v5, s[72:73]
	v_cndmask_b32_e64 v2, v2, v4, s[72:73]
	v_readlane_b32 s72, v253, 20
	v_add_f64 v[4:5], v[2:3], v[16:17]
	v_readlane_b32 s73, v253, 21
	v_cndmask_b32_e64 v3, v3, v5, s[72:73]
	v_cndmask_b32_e64 v2, v2, v4, s[72:73]
	v_readlane_b32 s72, v253, 22
	;; [unrolled: 5-line block ×76, first 2 shown]
	v_add_f64 v[4:5], v[2:3], v[166:167]
	v_readlane_b32 s73, v252, 43
	v_cndmask_b32_e64 v3, v3, v5, s[72:73]
	v_cndmask_b32_e64 v2, v2, v4, s[72:73]
	v_add_f64 v[4:5], v[2:3], v[168:169]
	v_cndmask_b32_e64 v3, v3, v5, s[74:75]
	v_cndmask_b32_e64 v2, v2, v4, s[74:75]
	v_add_f64 v[4:5], v[2:3], v[170:171]
	;; [unrolled: 3-line block ×44, first 2 shown]
	v_cndmask_b32_e64 v3, v3, v5, s[66:67]
	v_cndmask_b32_e64 v2, v2, v4, s[66:67]
	v_mbcnt_lo_u32_b32 v1, -1, 0
	v_add_f64 v[4:5], v[2:3], v[10:11]
	v_mbcnt_hi_u32_b32 v1, -1, v1
	v_cndmask_b32_e64 v3, v3, v5, s[68:69]
	v_cndmask_b32_e64 v2, v2, v4, s[68:69]
	v_and_b32_e32 v6, 63, v1
	v_add_f64 v[4:5], v[2:3], v[12:13]
	v_cmp_ne_u32_e32 vcc, 63, v6
	v_cndmask_b32_e64 v2, v2, v4, s[70:71]
	v_addc_co_u32_e32 v4, vcc, 0, v1, vcc
	v_cndmask_b32_e64 v3, v3, v5, s[70:71]
	v_lshlrev_b32_e32 v5, 2, v4
	ds_bpermute_b32 v4, v5, v2
	ds_bpermute_b32 v5, v5, v3
	s_min_u32 s4, s33, 0x100
	v_and_b32_e32 v7, 0xc0, v0
	v_sub_u32_e64 v7, s4, v7 clamp
	v_add_u32_e32 v8, 1, v1
	s_waitcnt lgkmcnt(0)
	v_add_f64 v[4:5], v[2:3], v[4:5]
	v_cmp_lt_u32_e32 vcc, v8, v7
	v_cndmask_b32_e32 v2, v2, v4, vcc
	v_cndmask_b32_e32 v3, v3, v5, vcc
	v_cmp_gt_u32_e32 vcc, 62, v6
	v_cndmask_b32_e64 v4, 0, 1, vcc
	v_lshlrev_b32_e32 v4, 1, v4
	v_add_lshl_u32 v5, v4, v1, 2
	ds_bpermute_b32 v4, v5, v2
	ds_bpermute_b32 v5, v5, v3
	v_add_u32_e32 v8, 2, v1
	v_cmp_lt_u32_e32 vcc, v8, v7
	v_add_u32_e32 v8, 4, v1
	v_cmp_gt_u32_e64 s[0:1], 32, v6
	s_waitcnt lgkmcnt(0)
	v_add_f64 v[4:5], v[2:3], v[4:5]
	v_cndmask_b32_e32 v2, v2, v4, vcc
	v_cndmask_b32_e32 v3, v3, v5, vcc
	v_cmp_gt_u32_e32 vcc, 60, v6
	v_cndmask_b32_e64 v4, 0, 1, vcc
	v_lshlrev_b32_e32 v4, 2, v4
	v_add_lshl_u32 v5, v4, v1, 2
	ds_bpermute_b32 v4, v5, v2
	ds_bpermute_b32 v5, v5, v3
	v_cmp_lt_u32_e32 vcc, v8, v7
	v_add_u32_e32 v8, 8, v1
	s_waitcnt lgkmcnt(0)
	v_add_f64 v[4:5], v[2:3], v[4:5]
	v_cndmask_b32_e32 v2, v2, v4, vcc
	v_cndmask_b32_e32 v3, v3, v5, vcc
	v_cmp_gt_u32_e32 vcc, 56, v6
	v_cndmask_b32_e64 v4, 0, 1, vcc
	v_lshlrev_b32_e32 v4, 3, v4
	v_add_lshl_u32 v5, v4, v1, 2
	ds_bpermute_b32 v4, v5, v2
	ds_bpermute_b32 v5, v5, v3
	v_cmp_lt_u32_e32 vcc, v8, v7
	v_add_u32_e32 v8, 16, v1
	s_waitcnt lgkmcnt(0)
	v_add_f64 v[4:5], v[2:3], v[4:5]
	v_cndmask_b32_e32 v2, v2, v4, vcc
	v_cndmask_b32_e32 v3, v3, v5, vcc
	v_cmp_gt_u32_e32 vcc, 48, v6
	v_cndmask_b32_e64 v4, 0, 1, vcc
	v_lshlrev_b32_e32 v4, 4, v4
	v_add_lshl_u32 v5, v4, v1, 2
	ds_bpermute_b32 v4, v5, v2
	ds_bpermute_b32 v5, v5, v3
	v_cmp_lt_u32_e32 vcc, v8, v7
	s_waitcnt lgkmcnt(0)
	v_add_f64 v[4:5], v[2:3], v[4:5]
	v_cndmask_b32_e32 v2, v2, v4, vcc
	v_cndmask_b32_e64 v4, 0, 1, s[0:1]
	v_lshlrev_b32_e32 v4, 5, v4
	v_add_lshl_u32 v6, v4, v1, 2
	v_cndmask_b32_e32 v3, v3, v5, vcc
	ds_bpermute_b32 v4, v6, v2
	ds_bpermute_b32 v5, v6, v3
	v_add_u32_e32 v6, 32, v1
	v_cmp_lt_u32_e32 vcc, v6, v7
	s_waitcnt lgkmcnt(0)
	v_add_f64 v[4:5], v[2:3], v[4:5]
	v_cndmask_b32_e32 v5, v3, v5, vcc
	v_cndmask_b32_e32 v4, v2, v4, vcc
	v_cmp_eq_u32_e32 vcc, 0, v1
	s_and_saveexec_b64 s[0:1], vcc
	s_cbranch_execz .LBB3_265
; %bb.264:
	v_lshrrev_b32_e32 v2, 3, v0
	v_and_b32_e32 v2, 24, v2
	ds_write_b64 v2, v[4:5] offset:32
.LBB3_265:
	s_or_b64 exec, exec, s[0:1]
	v_cmp_gt_u32_e32 vcc, 4, v0
	s_waitcnt lgkmcnt(0)
	s_barrier
	s_and_saveexec_b64 s[2:3], vcc
	s_cbranch_execz .LBB3_269
; %bb.266:
	v_lshlrev_b32_e32 v2, 3, v1
	ds_read_b64 v[4:5], v2 offset:32
	v_and_b32_e32 v8, 3, v1
	v_cmp_ne_u32_e32 vcc, 3, v8
	v_addc_co_u32_e32 v2, vcc, 0, v1, vcc
	v_lshlrev_b32_e32 v3, 2, v2
	s_waitcnt lgkmcnt(0)
	ds_bpermute_b32 v2, v3, v4
	ds_bpermute_b32 v3, v3, v5
	s_add_i32 s4, s4, 63
	v_cmp_gt_u32_e64 s[0:1], 2, v8
	s_lshr_b32 s4, s4, 6
	v_add_u32_e32 v6, 1, v8
	v_cndmask_b32_e64 v9, 0, 1, s[0:1]
	s_waitcnt lgkmcnt(0)
	v_add_f64 v[2:3], v[4:5], v[2:3]
	v_cmp_gt_u32_e32 vcc, s4, v6
	v_lshlrev_b32_e32 v9, 1, v9
	v_cndmask_b32_e32 v7, v5, v3, vcc
	v_cndmask_b32_e32 v6, v4, v2, vcc
	v_add_lshl_u32 v1, v9, v1, 2
	ds_bpermute_b32 v6, v1, v6
	ds_bpermute_b32 v7, v1, v7
	s_and_saveexec_b64 s[0:1], vcc
	s_cbranch_execz .LBB3_268
; %bb.267:
	v_add_u32_e32 v1, 2, v8
	s_waitcnt lgkmcnt(0)
	v_add_f64 v[4:5], v[2:3], v[6:7]
	v_cmp_gt_u32_e32 vcc, s4, v1
	v_cndmask_b32_e32 v5, v3, v5, vcc
	v_cndmask_b32_e32 v4, v2, v4, vcc
.LBB3_268:
	s_or_b64 exec, exec, s[0:1]
.LBB3_269:
	s_or_b64 exec, exec, s[2:3]
.LBB3_270:
	v_cmp_eq_u32_e32 vcc, 0, v0
	s_and_saveexec_b64 s[0:1], vcc
	s_cbranch_execnz .LBB3_272
; %bb.271:
	s_endpgm
.LBB3_272:
	v_readlane_b32 s0, v253, 8
	v_readlane_b32 s4, v253, 0
	;; [unrolled: 1-line block ×8, first 2 shown]
	s_lshl_b64 s[0:1], s[0:1], 3
	v_readlane_b32 s10, v253, 6
	v_readlane_b32 s11, v253, 7
	s_mov_b64 s[2:3], s[6:7]
	s_mov_b64 s[4:5], s[8:9]
	s_add_u32 s0, s4, s0
	s_addc_u32 s1, s5, s1
	s_mov_b64 s[6:7], s[10:11]
	s_cmp_eq_u64 s[2:3], 0
	v_add_f64 v[0:1], v[4:5], s[6:7]
	v_mov_b32_e32 v3, s7
	s_cselect_b64 vcc, -1, 0
	v_cndmask_b32_e32 v1, v1, v3, vcc
	v_mov_b32_e32 v3, s6
	v_mov_b32_e32 v2, 0
	v_cndmask_b32_e32 v0, v0, v3, vcc
	global_store_dwordx2 v2, v[0:1], s[0:1]
	s_endpgm
	.section	.rodata,"a",@progbits
	.p2align	6, 0x0
	.amdhsa_kernel _ZN7rocprim6detail19block_reduce_kernelILb1ELb1ELj8ENS0_21wrapped_reduce_configINS_14default_configEdEEdPdS5_dNS_4plusIdEEEEvT4_mT5_T6_T7_
		.amdhsa_group_segment_fixed_size 64
		.amdhsa_private_segment_fixed_size 0
		.amdhsa_kernarg_size 36
		.amdhsa_user_sgpr_count 6
		.amdhsa_user_sgpr_private_segment_buffer 1
		.amdhsa_user_sgpr_dispatch_ptr 0
		.amdhsa_user_sgpr_queue_ptr 0
		.amdhsa_user_sgpr_kernarg_segment_ptr 1
		.amdhsa_user_sgpr_dispatch_id 0
		.amdhsa_user_sgpr_flat_scratch_init 0
		.amdhsa_user_sgpr_kernarg_preload_length 0
		.amdhsa_user_sgpr_kernarg_preload_offset 0
		.amdhsa_user_sgpr_private_segment_size 0
		.amdhsa_uses_dynamic_stack 0
		.amdhsa_system_sgpr_private_segment_wavefront_offset 0
		.amdhsa_system_sgpr_workgroup_id_x 1
		.amdhsa_system_sgpr_workgroup_id_y 0
		.amdhsa_system_sgpr_workgroup_id_z 0
		.amdhsa_system_sgpr_workgroup_info 0
		.amdhsa_system_vgpr_workitem_id 0
		.amdhsa_next_free_vgpr 266
		.amdhsa_next_free_sgpr 96
		.amdhsa_accum_offset 256
		.amdhsa_reserve_vcc 1
		.amdhsa_reserve_flat_scratch 0
		.amdhsa_float_round_mode_32 0
		.amdhsa_float_round_mode_16_64 0
		.amdhsa_float_denorm_mode_32 3
		.amdhsa_float_denorm_mode_16_64 3
		.amdhsa_dx10_clamp 1
		.amdhsa_ieee_mode 1
		.amdhsa_fp16_overflow 0
		.amdhsa_tg_split 0
		.amdhsa_exception_fp_ieee_invalid_op 0
		.amdhsa_exception_fp_denorm_src 0
		.amdhsa_exception_fp_ieee_div_zero 0
		.amdhsa_exception_fp_ieee_overflow 0
		.amdhsa_exception_fp_ieee_underflow 0
		.amdhsa_exception_fp_ieee_inexact 0
		.amdhsa_exception_int_div_zero 0
	.end_amdhsa_kernel
	.section	.text._ZN7rocprim6detail19block_reduce_kernelILb1ELb1ELj8ENS0_21wrapped_reduce_configINS_14default_configEdEEdPdS5_dNS_4plusIdEEEEvT4_mT5_T6_T7_,"axG",@progbits,_ZN7rocprim6detail19block_reduce_kernelILb1ELb1ELj8ENS0_21wrapped_reduce_configINS_14default_configEdEEdPdS5_dNS_4plusIdEEEEvT4_mT5_T6_T7_,comdat
.Lfunc_end3:
	.size	_ZN7rocprim6detail19block_reduce_kernelILb1ELb1ELj8ENS0_21wrapped_reduce_configINS_14default_configEdEEdPdS5_dNS_4plusIdEEEEvT4_mT5_T6_T7_, .Lfunc_end3-_ZN7rocprim6detail19block_reduce_kernelILb1ELb1ELj8ENS0_21wrapped_reduce_configINS_14default_configEdEEdPdS5_dNS_4plusIdEEEEvT4_mT5_T6_T7_
                                        ; -- End function
	.section	.AMDGPU.csdata,"",@progbits
; Kernel info:
; codeLenInByte = 17232
; NumSgprs: 100
; NumVgprs: 255
; NumAgprs: 10
; TotalNumVgprs: 266
; ScratchSize: 0
; MemoryBound: 1
; FloatMode: 240
; IeeeMode: 1
; LDSByteSize: 64 bytes/workgroup (compile time only)
; SGPRBlocks: 12
; VGPRBlocks: 33
; NumSGPRsForWavesPerEU: 100
; NumVGPRsForWavesPerEU: 266
; AccumOffset: 256
; Occupancy: 1
; WaveLimiterHint : 1
; COMPUTE_PGM_RSRC2:SCRATCH_EN: 0
; COMPUTE_PGM_RSRC2:USER_SGPR: 6
; COMPUTE_PGM_RSRC2:TRAP_HANDLER: 0
; COMPUTE_PGM_RSRC2:TGID_X_EN: 1
; COMPUTE_PGM_RSRC2:TGID_Y_EN: 0
; COMPUTE_PGM_RSRC2:TGID_Z_EN: 0
; COMPUTE_PGM_RSRC2:TIDIG_COMP_CNT: 0
; COMPUTE_PGM_RSRC3_GFX90A:ACCUM_OFFSET: 63
; COMPUTE_PGM_RSRC3_GFX90A:TG_SPLIT: 0
	.section	.text._ZN7rocprim6detail19block_reduce_kernelILb1ELb1ELj16ENS0_21wrapped_reduce_configINS_14default_configEdEEdPdS5_dNS_4plusIdEEEEvT4_mT5_T6_T7_,"axG",@progbits,_ZN7rocprim6detail19block_reduce_kernelILb1ELb1ELj16ENS0_21wrapped_reduce_configINS_14default_configEdEEdPdS5_dNS_4plusIdEEEEvT4_mT5_T6_T7_,comdat
	.protected	_ZN7rocprim6detail19block_reduce_kernelILb1ELb1ELj16ENS0_21wrapped_reduce_configINS_14default_configEdEEdPdS5_dNS_4plusIdEEEEvT4_mT5_T6_T7_ ; -- Begin function _ZN7rocprim6detail19block_reduce_kernelILb1ELb1ELj16ENS0_21wrapped_reduce_configINS_14default_configEdEEdPdS5_dNS_4plusIdEEEEvT4_mT5_T6_T7_
	.globl	_ZN7rocprim6detail19block_reduce_kernelILb1ELb1ELj16ENS0_21wrapped_reduce_configINS_14default_configEdEEdPdS5_dNS_4plusIdEEEEvT4_mT5_T6_T7_
	.p2align	8
	.type	_ZN7rocprim6detail19block_reduce_kernelILb1ELb1ELj16ENS0_21wrapped_reduce_configINS_14default_configEdEEdPdS5_dNS_4plusIdEEEEvT4_mT5_T6_T7_,@function
_ZN7rocprim6detail19block_reduce_kernelILb1ELb1ELj16ENS0_21wrapped_reduce_configINS_14default_configEdEEdPdS5_dNS_4plusIdEEEEvT4_mT5_T6_T7_: ; @_ZN7rocprim6detail19block_reduce_kernelILb1ELb1ELj16ENS0_21wrapped_reduce_configINS_14default_configEdEEdPdS5_dNS_4plusIdEEEEvT4_mT5_T6_T7_
; %bb.0:
	s_load_dwordx8 s[12:19], s[4:5], 0x0
	s_mov_b64 s[98:99], s[2:3]
	s_mov_b64 s[96:97], s[0:1]
	s_add_u32 s96, s96, s7
	s_addc_u32 s97, s97, 0
	s_lshl_b32 s0, s6, 16
	s_mov_b32 s1, 0
	s_waitcnt lgkmcnt(0)
	s_mov_b64 s[8:9], s[16:17]
	s_mov_b32 s20, s6
	s_lshr_b64 s[2:3], s[14:15], 16
	s_lshl_b64 s[4:5], s[0:1], 3
	s_mov_b64 s[10:11], s[18:19]
	s_mov_b64 s[6:7], s[14:15]
                                        ; implicit-def: $vgpr249 : SGPR spill to VGPR lane
	s_mov_b32 s21, s1
	s_add_u32 s1, s12, s4
	v_writelane_b32 v249, s4, 0
	v_writelane_b32 v249, s5, 1
	;; [unrolled: 1-line block ×6, first 2 shown]
	v_mov_b32_e32 v248, v0
	v_writelane_b32 v249, s10, 6
	v_writelane_b32 v249, s11, 7
	s_addc_u32 s4, s13, s5
	v_lshlrev_b32_e32 v0, 3, v248
	v_writelane_b32 v249, s20, 8
	v_mov_b32_e32 v1, s4
	v_add_co_u32_e32 v196, vcc, s1, v0
	v_writelane_b32 v249, s21, 9
	s_cmp_lg_u64 s[2:3], s[20:21]
	v_addc_co_u32_e32 v197, vcc, 0, v1, vcc
	s_cbranch_scc0 .LBB4_6
; %bb.1:
	v_add_co_u32_e32 v4, vcc, 0x1000, v196
	v_addc_co_u32_e32 v5, vcc, 0, v197, vcc
	v_add_co_u32_e32 v12, vcc, 0x2000, v196
	v_addc_co_u32_e32 v13, vcc, 0, v197, vcc
	;; [unrolled: 2-line block ×3, first 2 shown]
	global_load_dwordx2 v[8:9], v[196:197], off
	global_load_dwordx2 v[10:11], v[196:197], off offset:2048
	global_load_dwordx2 v[0:1], v[4:5], off
	global_load_dwordx2 v[2:3], v[4:5], off offset:2048
	;; [unrolled: 2-line block ×3, first 2 shown]
	global_load_dwordx2 v[16:17], v[14:15], off
	s_nop 0
	global_load_dwordx2 v[4:5], v[14:15], off offset:2048
	v_add_co_u32_e32 v12, vcc, 0x4000, v196
	v_addc_co_u32_e32 v13, vcc, 0, v197, vcc
	v_add_co_u32_e32 v14, vcc, 0x5000, v196
	v_addc_co_u32_e32 v15, vcc, 0, v197, vcc
	global_load_dwordx2 v[32:33], v[12:13], off
	global_load_dwordx2 v[22:23], v[12:13], off offset:2048
	global_load_dwordx2 v[18:19], v[14:15], off
	global_load_dwordx2 v[20:21], v[14:15], off offset:2048
	v_add_co_u32_e32 v12, vcc, 0x6000, v196
	v_addc_co_u32_e32 v13, vcc, 0, v197, vcc
	v_add_co_u32_e32 v14, vcc, 0x7000, v196
	v_addc_co_u32_e32 v15, vcc, 0, v197, vcc
	global_load_dwordx2 v[40:41], v[12:13], off
	global_load_dwordx2 v[30:31], v[12:13], off offset:2048
	global_load_dwordx2 v[26:27], v[14:15], off
	global_load_dwordx2 v[28:29], v[14:15], off offset:2048
	v_add_co_u32_e32 v12, vcc, 0x8000, v196
	v_addc_co_u32_e32 v13, vcc, 0, v197, vcc
	v_add_co_u32_e32 v14, vcc, 0x9000, v196
	v_addc_co_u32_e32 v15, vcc, 0, v197, vcc
	global_load_dwordx2 v[48:49], v[12:13], off
	global_load_dwordx2 v[38:39], v[12:13], off offset:2048
	global_load_dwordx2 v[34:35], v[14:15], off
	global_load_dwordx2 v[36:37], v[14:15], off offset:2048
	v_add_co_u32_e32 v12, vcc, 0xa000, v196
	v_addc_co_u32_e32 v13, vcc, 0, v197, vcc
	v_add_co_u32_e32 v14, vcc, 0xb000, v196
	v_addc_co_u32_e32 v15, vcc, 0, v197, vcc
	global_load_dwordx2 v[56:57], v[12:13], off
	global_load_dwordx2 v[46:47], v[12:13], off offset:2048
	global_load_dwordx2 v[42:43], v[14:15], off
	global_load_dwordx2 v[44:45], v[14:15], off offset:2048
	v_add_co_u32_e32 v12, vcc, 0xc000, v196
	v_addc_co_u32_e32 v13, vcc, 0, v197, vcc
	v_add_co_u32_e32 v14, vcc, 0xd000, v196
	v_addc_co_u32_e32 v15, vcc, 0, v197, vcc
	global_load_dwordx2 v[64:65], v[12:13], off
	global_load_dwordx2 v[54:55], v[12:13], off offset:2048
	global_load_dwordx2 v[50:51], v[14:15], off
	global_load_dwordx2 v[52:53], v[14:15], off offset:2048
	v_add_co_u32_e32 v12, vcc, 0xe000, v196
	v_addc_co_u32_e32 v13, vcc, 0, v197, vcc
	v_add_co_u32_e32 v14, vcc, 0xf000, v196
	v_addc_co_u32_e32 v15, vcc, 0, v197, vcc
	global_load_dwordx2 v[72:73], v[12:13], off
	global_load_dwordx2 v[62:63], v[12:13], off offset:2048
	global_load_dwordx2 v[58:59], v[14:15], off
	global_load_dwordx2 v[60:61], v[14:15], off offset:2048
	v_add_co_u32_e32 v12, vcc, 0x10000, v196
	v_addc_co_u32_e32 v13, vcc, 0, v197, vcc
	v_add_co_u32_e32 v14, vcc, 0x11000, v196
	v_addc_co_u32_e32 v15, vcc, 0, v197, vcc
	global_load_dwordx2 v[80:81], v[12:13], off
	global_load_dwordx2 v[70:71], v[12:13], off offset:2048
	global_load_dwordx2 v[66:67], v[14:15], off
	global_load_dwordx2 v[68:69], v[14:15], off offset:2048
	v_add_co_u32_e32 v12, vcc, 0x12000, v196
	v_addc_co_u32_e32 v13, vcc, 0, v197, vcc
	v_add_co_u32_e32 v14, vcc, 0x13000, v196
	v_addc_co_u32_e32 v15, vcc, 0, v197, vcc
	global_load_dwordx2 v[88:89], v[12:13], off
	global_load_dwordx2 v[78:79], v[12:13], off offset:2048
	global_load_dwordx2 v[74:75], v[14:15], off
	global_load_dwordx2 v[76:77], v[14:15], off offset:2048
	v_add_co_u32_e32 v12, vcc, 0x14000, v196
	v_addc_co_u32_e32 v13, vcc, 0, v197, vcc
	v_add_co_u32_e32 v14, vcc, 0x15000, v196
	v_addc_co_u32_e32 v15, vcc, 0, v197, vcc
	global_load_dwordx2 v[96:97], v[12:13], off
	global_load_dwordx2 v[86:87], v[12:13], off offset:2048
	global_load_dwordx2 v[82:83], v[14:15], off
	global_load_dwordx2 v[84:85], v[14:15], off offset:2048
	v_add_co_u32_e32 v12, vcc, 0x16000, v196
	v_addc_co_u32_e32 v13, vcc, 0, v197, vcc
	v_add_co_u32_e32 v14, vcc, 0x17000, v196
	v_addc_co_u32_e32 v15, vcc, 0, v197, vcc
	global_load_dwordx2 v[104:105], v[12:13], off
	global_load_dwordx2 v[94:95], v[12:13], off offset:2048
	global_load_dwordx2 a[0:1], v[14:15], off
	global_load_dwordx2 a[2:3], v[14:15], off offset:2048
	v_add_co_u32_e32 v12, vcc, 0x18000, v196
	v_addc_co_u32_e32 v13, vcc, 0, v197, vcc
	v_add_co_u32_e32 v14, vcc, 0x19000, v196
	v_addc_co_u32_e32 v15, vcc, 0, v197, vcc
	global_load_dwordx2 v[112:113], v[12:13], off
	global_load_dwordx2 v[102:103], v[12:13], off offset:2048
	global_load_dwordx2 a[4:5], v[14:15], off
	global_load_dwordx2 a[6:7], v[14:15], off offset:2048
	v_add_co_u32_e32 v12, vcc, 0x1a000, v196
	v_addc_co_u32_e32 v13, vcc, 0, v197, vcc
	v_add_co_u32_e32 v14, vcc, 0x1b000, v196
	v_addc_co_u32_e32 v15, vcc, 0, v197, vcc
	global_load_dwordx2 v[120:121], v[12:13], off
	global_load_dwordx2 v[110:111], v[12:13], off offset:2048
	global_load_dwordx2 a[8:9], v[14:15], off
	global_load_dwordx2 a[10:11], v[14:15], off offset:2048
	v_add_co_u32_e32 v12, vcc, 0x1c000, v196
	v_addc_co_u32_e32 v13, vcc, 0, v197, vcc
	v_add_co_u32_e32 v14, vcc, 0x1d000, v196
	v_addc_co_u32_e32 v15, vcc, 0, v197, vcc
	global_load_dwordx2 v[132:133], v[12:13], off
	global_load_dwordx2 v[118:119], v[12:13], off offset:2048
	global_load_dwordx2 a[12:13], v[14:15], off
	global_load_dwordx2 a[14:15], v[14:15], off offset:2048
	v_add_co_u32_e32 v12, vcc, 0x1e000, v196
	v_addc_co_u32_e32 v13, vcc, 0, v197, vcc
	v_add_co_u32_e32 v14, vcc, 0x1f000, v196
	v_addc_co_u32_e32 v15, vcc, 0, v197, vcc
	global_load_dwordx2 v[146:147], v[12:13], off
	global_load_dwordx2 v[130:131], v[12:13], off offset:2048
	global_load_dwordx2 a[16:17], v[14:15], off
	global_load_dwordx2 a[18:19], v[14:15], off offset:2048
	v_add_co_u32_e32 v12, vcc, 0x20000, v196
	v_addc_co_u32_e32 v13, vcc, 0, v197, vcc
	v_add_co_u32_e32 v14, vcc, 0x21000, v196
	v_addc_co_u32_e32 v15, vcc, 0, v197, vcc
	global_load_dwordx2 v[154:155], v[12:13], off
	global_load_dwordx2 v[138:139], v[12:13], off offset:2048
	global_load_dwordx2 a[20:21], v[14:15], off
	global_load_dwordx2 a[22:23], v[14:15], off offset:2048
	v_add_co_u32_e32 v12, vcc, 0x22000, v196
	v_addc_co_u32_e32 v13, vcc, 0, v197, vcc
	v_add_co_u32_e32 v14, vcc, 0x23000, v196
	v_addc_co_u32_e32 v15, vcc, 0, v197, vcc
	global_load_dwordx2 v[162:163], v[12:13], off
	global_load_dwordx2 v[144:145], v[12:13], off offset:2048
	global_load_dwordx2 a[24:25], v[14:15], off
	global_load_dwordx2 a[26:27], v[14:15], off offset:2048
	v_add_co_u32_e32 v12, vcc, 0x24000, v196
	v_addc_co_u32_e32 v13, vcc, 0, v197, vcc
	v_add_co_u32_e32 v14, vcc, 0x25000, v196
	v_addc_co_u32_e32 v15, vcc, 0, v197, vcc
	global_load_dwordx2 v[170:171], v[12:13], off
	global_load_dwordx2 v[152:153], v[12:13], off offset:2048
	global_load_dwordx2 a[28:29], v[14:15], off
	global_load_dwordx2 a[30:31], v[14:15], off offset:2048
	v_add_co_u32_e32 v12, vcc, 0x26000, v196
	v_addc_co_u32_e32 v13, vcc, 0, v197, vcc
	v_add_co_u32_e32 v14, vcc, 0x27000, v196
	v_addc_co_u32_e32 v15, vcc, 0, v197, vcc
	global_load_dwordx2 v[178:179], v[12:13], off
	global_load_dwordx2 v[160:161], v[12:13], off offset:2048
	global_load_dwordx2 a[32:33], v[14:15], off
	global_load_dwordx2 a[34:35], v[14:15], off offset:2048
	v_add_co_u32_e32 v12, vcc, 0x28000, v196
	v_addc_co_u32_e32 v13, vcc, 0, v197, vcc
	v_add_co_u32_e32 v14, vcc, 0x29000, v196
	v_addc_co_u32_e32 v15, vcc, 0, v197, vcc
	global_load_dwordx2 v[186:187], v[12:13], off
	global_load_dwordx2 v[168:169], v[12:13], off offset:2048
	global_load_dwordx2 a[36:37], v[14:15], off
	global_load_dwordx2 a[38:39], v[14:15], off offset:2048
	v_add_co_u32_e32 v12, vcc, 0x2a000, v196
	v_addc_co_u32_e32 v13, vcc, 0, v197, vcc
	v_add_co_u32_e32 v14, vcc, 0x2b000, v196
	v_addc_co_u32_e32 v15, vcc, 0, v197, vcc
	global_load_dwordx2 v[194:195], v[12:13], off
	global_load_dwordx2 v[176:177], v[12:13], off offset:2048
	global_load_dwordx2 a[40:41], v[14:15], off
	global_load_dwordx2 a[42:43], v[14:15], off offset:2048
	v_add_co_u32_e32 v12, vcc, 0x2c000, v196
	v_addc_co_u32_e32 v13, vcc, 0, v197, vcc
	v_add_co_u32_e32 v14, vcc, 0x2d000, v196
	v_addc_co_u32_e32 v15, vcc, 0, v197, vcc
	global_load_dwordx2 v[202:203], v[12:13], off
	global_load_dwordx2 v[184:185], v[12:13], off offset:2048
	global_load_dwordx2 a[44:45], v[14:15], off
	global_load_dwordx2 a[46:47], v[14:15], off offset:2048
	v_add_co_u32_e32 v12, vcc, 0x2e000, v196
	v_addc_co_u32_e32 v13, vcc, 0, v197, vcc
	v_add_co_u32_e32 v14, vcc, 0x2f000, v196
	v_addc_co_u32_e32 v15, vcc, 0, v197, vcc
	global_load_dwordx2 v[210:211], v[12:13], off
	global_load_dwordx2 v[192:193], v[12:13], off offset:2048
	global_load_dwordx2 a[48:49], v[14:15], off
	global_load_dwordx2 a[50:51], v[14:15], off offset:2048
	v_add_co_u32_e32 v12, vcc, 0x30000, v196
	v_addc_co_u32_e32 v13, vcc, 0, v197, vcc
	v_add_co_u32_e32 v14, vcc, 0x31000, v196
	v_addc_co_u32_e32 v15, vcc, 0, v197, vcc
	global_load_dwordx2 v[218:219], v[12:13], off
	global_load_dwordx2 v[200:201], v[12:13], off offset:2048
	global_load_dwordx2 a[52:53], v[14:15], off
	global_load_dwordx2 a[54:55], v[14:15], off offset:2048
	v_add_co_u32_e32 v12, vcc, 0x32000, v196
	v_addc_co_u32_e32 v13, vcc, 0, v197, vcc
	v_add_co_u32_e32 v14, vcc, 0x33000, v196
	v_addc_co_u32_e32 v15, vcc, 0, v197, vcc
	global_load_dwordx2 v[226:227], v[12:13], off
	global_load_dwordx2 v[208:209], v[12:13], off offset:2048
	global_load_dwordx2 a[56:57], v[14:15], off
	global_load_dwordx2 a[58:59], v[14:15], off offset:2048
	v_add_co_u32_e32 v12, vcc, 0x34000, v196
	v_addc_co_u32_e32 v13, vcc, 0, v197, vcc
	v_add_co_u32_e32 v14, vcc, 0x35000, v196
	v_addc_co_u32_e32 v15, vcc, 0, v197, vcc
	global_load_dwordx2 v[234:235], v[12:13], off
	global_load_dwordx2 v[216:217], v[12:13], off offset:2048
	global_load_dwordx2 a[60:61], v[14:15], off
	global_load_dwordx2 a[62:63], v[14:15], off offset:2048
	v_add_co_u32_e32 v12, vcc, 0x36000, v196
	v_addc_co_u32_e32 v13, vcc, 0, v197, vcc
	v_add_co_u32_e32 v14, vcc, 0x37000, v196
	v_addc_co_u32_e32 v15, vcc, 0, v197, vcc
	s_waitcnt vmcnt(62)
	v_add_f64 v[8:9], v[8:9], v[10:11]
	global_load_dwordx2 v[242:243], v[12:13], off
	global_load_dwordx2 v[224:225], v[12:13], off offset:2048
	global_load_dwordx2 a[64:65], v[14:15], off
	global_load_dwordx2 a[66:67], v[14:15], off offset:2048
	v_add_co_u32_e32 v12, vcc, 0x38000, v196
	v_add_f64 v[8:9], v[8:9], v[0:1]
	v_addc_co_u32_e32 v13, vcc, 0, v197, vcc
	v_add_f64 v[8:9], v[8:9], v[2:3]
	v_add_co_u32_e32 v14, vcc, 0x39000, v196
	v_add_f64 v[8:9], v[8:9], v[24:25]
	v_addc_co_u32_e32 v15, vcc, 0, v197, vcc
	v_add_f64 v[6:7], v[8:9], v[6:7]
	global_load_dwordx2 v[246:247], v[12:13], off
	global_load_dwordx2 v[232:233], v[12:13], off offset:2048
	global_load_dwordx2 a[68:69], v[14:15], off
	global_load_dwordx2 a[70:71], v[14:15], off offset:2048
	v_add_co_u32_e32 v12, vcc, 0x3a000, v196
	v_add_f64 v[6:7], v[6:7], v[16:17]
	v_addc_co_u32_e32 v13, vcc, 0, v197, vcc
	v_add_f64 v[4:5], v[6:7], v[4:5]
	v_add_co_u32_e32 v14, vcc, 0x3b000, v196
	v_add_f64 v[4:5], v[4:5], v[32:33]
	v_addc_co_u32_e32 v15, vcc, 0, v197, vcc
	;; [unrolled: 12-line block ×5, first 2 shown]
	v_add_f64 v[4:5], v[4:5], v[46:47]
	v_add_co_u32_e32 v6, vcc, 0x42000, v196
	v_add_f64 v[4:5], v[4:5], v[42:43]
	v_addc_co_u32_e32 v7, vcc, 0, v197, vcc
	v_add_f64 v[4:5], v[4:5], v[44:45]
	global_load_dwordx2 v[206:207], v[10:11], off
	global_load_dwordx2 v[236:237], v[10:11], off offset:2048
	global_load_dwordx2 a[84:85], v[8:9], off
	global_load_dwordx2 a[86:87], v[8:9], off offset:2048
	v_add_co_u32_e32 v8, vcc, 0x43000, v196
	v_add_f64 v[4:5], v[4:5], v[64:65]
	v_addc_co_u32_e32 v9, vcc, 0, v197, vcc
	v_add_f64 v[4:5], v[4:5], v[54:55]
	global_load_dwordx2 v[228:229], v[6:7], off
	global_load_dwordx2 v[220:221], v[6:7], off offset:2048
	global_load_dwordx2 a[88:89], v[8:9], off
	global_load_dwordx2 a[90:91], v[8:9], off offset:2048
	v_add_co_u32_e32 v6, vcc, 0x44000, v196
	v_add_f64 v[4:5], v[4:5], v[50:51]
	v_addc_co_u32_e32 v7, vcc, 0, v197, vcc
	v_add_f64 v[4:5], v[4:5], v[52:53]
	v_add_co_u32_e32 v8, vcc, 0x45000, v196
	v_add_f64 v[4:5], v[4:5], v[72:73]
	v_addc_co_u32_e32 v9, vcc, 0, v197, vcc
	v_add_f64 v[4:5], v[4:5], v[62:63]
	global_load_dwordx2 v[214:215], v[6:7], off
	global_load_dwordx2 v[190:191], v[6:7], off offset:2048
	global_load_dwordx2 v[212:213], v[8:9], off
	global_load_dwordx2 v[204:205], v[8:9], off offset:2048
	v_add_co_u32_e32 v6, vcc, 0x46000, v196
	v_add_f64 v[4:5], v[4:5], v[58:59]
	v_addc_co_u32_e32 v7, vcc, 0, v197, vcc
	v_add_f64 v[4:5], v[4:5], v[60:61]
	;; [unrolled: 12-line block ×5, first 2 shown]
	v_add_co_u32_e32 v8, vcc, 0x4d000, v196
	v_add_f64 v[4:5], v[4:5], v[104:105]
	s_waitcnt vmcnt(62)
	v_accvgpr_read_b32 v0, a0
	v_addc_co_u32_e32 v9, vcc, 0, v197, vcc
	v_add_f64 v[4:5], v[4:5], v[94:95]
	v_accvgpr_read_b32 v1, a1
	global_load_dwordx2 v[140:141], v[6:7], off
	global_load_dwordx2 v[128:129], v[6:7], off offset:2048
	global_load_dwordx2 v[136:137], v[8:9], off
	global_load_dwordx2 v[134:135], v[8:9], off offset:2048
	v_add_co_u32_e32 v6, vcc, 0x4e000, v196
	v_add_f64 v[4:5], v[4:5], v[0:1]
	v_accvgpr_read_b32 v0, a2
	v_addc_co_u32_e32 v7, vcc, 0, v197, vcc
	v_accvgpr_read_b32 v1, a3
	v_add_co_u32_e32 v8, vcc, 0x4f000, v196
	v_add_f64 v[4:5], v[4:5], v[0:1]
	v_addc_co_u32_e32 v9, vcc, 0, v197, vcc
	v_add_f64 v[4:5], v[4:5], v[112:113]
	v_accvgpr_read_b32 v0, a4
	global_load_dwordx2 v[122:123], v[6:7], off
	global_load_dwordx2 v[124:125], v[6:7], off offset:2048
	global_load_dwordx2 v[116:117], v[8:9], off
	global_load_dwordx2 v[126:127], v[8:9], off offset:2048
	v_add_co_u32_e32 v6, vcc, 0x50000, v196
	v_add_f64 v[4:5], v[4:5], v[102:103]
	v_accvgpr_read_b32 v1, a5
	v_addc_co_u32_e32 v7, vcc, 0, v197, vcc
	v_add_f64 v[4:5], v[4:5], v[0:1]
	v_accvgpr_read_b32 v0, a6
	v_add_co_u32_e32 v8, vcc, 0x51000, v196
	v_accvgpr_read_b32 v1, a7
	v_addc_co_u32_e32 v9, vcc, 0, v197, vcc
	v_add_f64 v[4:5], v[4:5], v[0:1]
	global_load_dwordx2 v[114:115], v[6:7], off
	global_load_dwordx2 v[100:101], v[6:7], off offset:2048
	global_load_dwordx2 v[108:109], v[8:9], off
	global_load_dwordx2 v[106:107], v[8:9], off offset:2048
	v_add_co_u32_e32 v6, vcc, 0x52000, v196
	v_add_f64 v[4:5], v[4:5], v[120:121]
	v_accvgpr_read_b32 v0, a8
	v_addc_co_u32_e32 v7, vcc, 0, v197, vcc
	v_add_f64 v[4:5], v[4:5], v[110:111]
	v_accvgpr_read_b32 v1, a9
	v_add_co_u32_e32 v8, vcc, 0x53000, v196
	v_add_f64 v[4:5], v[4:5], v[0:1]
	v_accvgpr_read_b32 v0, a10
	v_addc_co_u32_e32 v9, vcc, 0, v197, vcc
	v_accvgpr_read_b32 v1, a11
	global_load_dwordx2 v[92:93], v[6:7], off
	global_load_dwordx2 v[96:97], v[6:7], off offset:2048
	global_load_dwordx2 v[90:91], v[8:9], off
	global_load_dwordx2 v[98:99], v[8:9], off offset:2048
	v_add_co_u32_e32 v6, vcc, 0x54000, v196
	v_add_f64 v[4:5], v[4:5], v[0:1]
	v_addc_co_u32_e32 v7, vcc, 0, v197, vcc
	v_add_f64 v[4:5], v[4:5], v[132:133]
	v_accvgpr_read_b32 v0, a12
	v_add_co_u32_e32 v8, vcc, 0x55000, v196
	v_add_f64 v[4:5], v[4:5], v[118:119]
	v_accvgpr_read_b32 v1, a13
	v_addc_co_u32_e32 v9, vcc, 0, v197, vcc
	v_add_f64 v[4:5], v[4:5], v[0:1]
	v_accvgpr_read_b32 v0, a14
	global_load_dwordx2 v[94:95], v[6:7], off
	global_load_dwordx2 v[104:105], v[6:7], off offset:2048
	global_load_dwordx2 v[88:89], v[8:9], off
	global_load_dwordx2 v[86:87], v[8:9], off offset:2048
	v_add_co_u32_e32 v6, vcc, 0x56000, v196
	v_accvgpr_read_b32 v1, a15
	v_addc_co_u32_e32 v7, vcc, 0, v197, vcc
	v_add_f64 v[4:5], v[4:5], v[0:1]
	v_add_co_u32_e32 v8, vcc, 0x57000, v196
	v_add_f64 v[4:5], v[4:5], v[146:147]
	v_accvgpr_read_b32 v0, a16
	v_addc_co_u32_e32 v9, vcc, 0, v197, vcc
	v_add_f64 v[4:5], v[4:5], v[130:131]
	v_accvgpr_read_b32 v1, a17
	global_load_dwordx2 v[102:103], v[6:7], off
	global_load_dwordx2 v[112:113], v[6:7], off offset:2048
	global_load_dwordx2 v[84:85], v[8:9], off
	global_load_dwordx2 v[82:83], v[8:9], off offset:2048
	v_add_co_u32_e32 v6, vcc, 0x58000, v196
	v_add_f64 v[4:5], v[4:5], v[0:1]
	v_accvgpr_read_b32 v0, a18
	v_addc_co_u32_e32 v7, vcc, 0, v197, vcc
	v_accvgpr_read_b32 v1, a19
	v_add_co_u32_e32 v8, vcc, 0x59000, v196
	v_add_f64 v[4:5], v[4:5], v[0:1]
	v_addc_co_u32_e32 v9, vcc, 0, v197, vcc
	v_add_f64 v[4:5], v[4:5], v[154:155]
	v_accvgpr_read_b32 v0, a20
	global_load_dwordx2 v[110:111], v[6:7], off
	global_load_dwordx2 v[120:121], v[6:7], off offset:2048
	global_load_dwordx2 v[80:81], v[8:9], off
	global_load_dwordx2 v[78:79], v[8:9], off offset:2048
	v_add_co_u32_e32 v6, vcc, 0x5a000, v196
	v_add_f64 v[4:5], v[4:5], v[138:139]
	v_accvgpr_read_b32 v1, a21
	v_addc_co_u32_e32 v7, vcc, 0, v197, vcc
	v_add_f64 v[4:5], v[4:5], v[0:1]
	v_accvgpr_read_b32 v0, a22
	v_add_co_u32_e32 v8, vcc, 0x5b000, v196
	v_accvgpr_read_b32 v1, a23
	v_addc_co_u32_e32 v9, vcc, 0, v197, vcc
	v_add_f64 v[4:5], v[4:5], v[0:1]
	global_load_dwordx2 v[118:119], v[6:7], off
	global_load_dwordx2 v[132:133], v[6:7], off offset:2048
	global_load_dwordx2 v[76:77], v[8:9], off
	global_load_dwordx2 v[74:75], v[8:9], off offset:2048
	v_add_co_u32_e32 v6, vcc, 0x5c000, v196
	v_add_f64 v[4:5], v[4:5], v[162:163]
	v_accvgpr_read_b32 v0, a24
	v_addc_co_u32_e32 v7, vcc, 0, v197, vcc
	v_add_f64 v[4:5], v[4:5], v[144:145]
	v_accvgpr_read_b32 v1, a25
	v_add_co_u32_e32 v8, vcc, 0x5d000, v196
	v_add_f64 v[4:5], v[4:5], v[0:1]
	v_accvgpr_read_b32 v0, a26
	v_addc_co_u32_e32 v9, vcc, 0, v197, vcc
	v_accvgpr_read_b32 v1, a27
	global_load_dwordx2 v[130:131], v[6:7], off
	global_load_dwordx2 v[146:147], v[6:7], off offset:2048
	global_load_dwordx2 v[72:73], v[8:9], off
	global_load_dwordx2 v[70:71], v[8:9], off offset:2048
	v_add_co_u32_e32 v6, vcc, 0x5e000, v196
	v_add_f64 v[4:5], v[4:5], v[0:1]
	v_addc_co_u32_e32 v7, vcc, 0, v197, vcc
	v_add_f64 v[4:5], v[4:5], v[170:171]
	v_accvgpr_read_b32 v0, a28
	v_add_co_u32_e32 v8, vcc, 0x5f000, v196
	v_add_f64 v[4:5], v[4:5], v[152:153]
	v_accvgpr_read_b32 v1, a29
	v_addc_co_u32_e32 v9, vcc, 0, v197, vcc
	v_add_f64 v[4:5], v[4:5], v[0:1]
	v_accvgpr_read_b32 v0, a30
	global_load_dwordx2 v[138:139], v[6:7], off
	global_load_dwordx2 v[154:155], v[6:7], off offset:2048
	global_load_dwordx2 v[68:69], v[8:9], off
	global_load_dwordx2 v[66:67], v[8:9], off offset:2048
	v_add_co_u32_e32 v6, vcc, 0x60000, v196
	v_accvgpr_read_b32 v1, a31
	v_addc_co_u32_e32 v7, vcc, 0, v197, vcc
	v_add_f64 v[4:5], v[4:5], v[0:1]
	v_add_co_u32_e32 v8, vcc, 0x61000, v196
	v_add_f64 v[4:5], v[4:5], v[178:179]
	v_accvgpr_read_b32 v0, a32
	v_addc_co_u32_e32 v9, vcc, 0, v197, vcc
	v_add_f64 v[4:5], v[4:5], v[160:161]
	v_accvgpr_read_b32 v1, a33
	global_load_dwordx2 v[144:145], v[6:7], off
	global_load_dwordx2 v[162:163], v[6:7], off offset:2048
	global_load_dwordx2 v[64:65], v[8:9], off
	global_load_dwordx2 v[62:63], v[8:9], off offset:2048
	v_add_co_u32_e32 v6, vcc, 0x62000, v196
	v_add_f64 v[4:5], v[4:5], v[0:1]
	v_accvgpr_read_b32 v0, a34
	v_addc_co_u32_e32 v7, vcc, 0, v197, vcc
	v_accvgpr_read_b32 v1, a35
	v_add_co_u32_e32 v8, vcc, 0x63000, v196
	v_add_f64 v[4:5], v[4:5], v[0:1]
	v_addc_co_u32_e32 v9, vcc, 0, v197, vcc
	v_add_f64 v[4:5], v[4:5], v[186:187]
	v_accvgpr_read_b32 v0, a36
	global_load_dwordx2 v[152:153], v[6:7], off
	global_load_dwordx2 v[170:171], v[6:7], off offset:2048
	global_load_dwordx2 v[60:61], v[8:9], off
	global_load_dwordx2 v[58:59], v[8:9], off offset:2048
	v_add_co_u32_e32 v6, vcc, 0x64000, v196
	v_add_f64 v[4:5], v[4:5], v[168:169]
	v_accvgpr_read_b32 v1, a37
	v_addc_co_u32_e32 v7, vcc, 0, v197, vcc
	v_add_f64 v[4:5], v[4:5], v[0:1]
	v_accvgpr_read_b32 v0, a38
	v_add_co_u32_e32 v8, vcc, 0x65000, v196
	v_accvgpr_read_b32 v1, a39
	v_addc_co_u32_e32 v9, vcc, 0, v197, vcc
	v_add_f64 v[4:5], v[4:5], v[0:1]
	global_load_dwordx2 v[160:161], v[6:7], off
	global_load_dwordx2 v[178:179], v[6:7], off offset:2048
	global_load_dwordx2 v[56:57], v[8:9], off
	global_load_dwordx2 v[54:55], v[8:9], off offset:2048
	v_add_co_u32_e32 v6, vcc, 0x66000, v196
	v_add_f64 v[4:5], v[4:5], v[194:195]
	v_accvgpr_read_b32 v0, a40
	v_addc_co_u32_e32 v7, vcc, 0, v197, vcc
	v_add_f64 v[4:5], v[4:5], v[176:177]
	v_accvgpr_read_b32 v1, a41
	v_add_co_u32_e32 v8, vcc, 0x67000, v196
	v_add_f64 v[4:5], v[4:5], v[0:1]
	v_accvgpr_read_b32 v0, a42
	v_addc_co_u32_e32 v9, vcc, 0, v197, vcc
	v_accvgpr_read_b32 v1, a43
	global_load_dwordx2 v[168:169], v[6:7], off
	global_load_dwordx2 v[186:187], v[6:7], off offset:2048
	global_load_dwordx2 v[52:53], v[8:9], off
	global_load_dwordx2 v[50:51], v[8:9], off offset:2048
	v_add_co_u32_e32 v6, vcc, 0x68000, v196
	v_add_f64 v[4:5], v[4:5], v[0:1]
	v_addc_co_u32_e32 v7, vcc, 0, v197, vcc
	v_add_f64 v[4:5], v[4:5], v[202:203]
	s_waitcnt vmcnt(62)
	v_accvgpr_read_b32 v0, a44
	v_add_co_u32_e32 v8, vcc, 0x69000, v196
	v_add_f64 v[4:5], v[4:5], v[184:185]
	v_accvgpr_read_b32 v1, a45
	v_addc_co_u32_e32 v9, vcc, 0, v197, vcc
	v_add_f64 v[4:5], v[4:5], v[0:1]
	v_accvgpr_read_b32 v0, a46
	global_load_dwordx2 v[176:177], v[6:7], off
	global_load_dwordx2 v[194:195], v[6:7], off offset:2048
	global_load_dwordx2 v[48:49], v[8:9], off
	global_load_dwordx2 v[46:47], v[8:9], off offset:2048
	v_add_co_u32_e32 v6, vcc, 0x6a000, v196
	v_accvgpr_read_b32 v1, a47
	v_addc_co_u32_e32 v7, vcc, 0, v197, vcc
	v_add_f64 v[4:5], v[4:5], v[0:1]
	v_add_co_u32_e32 v10, vcc, 0x6b000, v196
	v_add_f64 v[4:5], v[4:5], v[210:211]
	v_accvgpr_read_b32 v0, a48
	v_addc_co_u32_e32 v11, vcc, 0, v197, vcc
	v_add_f64 v[4:5], v[4:5], v[192:193]
	v_accvgpr_read_b32 v1, a49
	global_load_dwordx2 v[184:185], v[6:7], off
	global_load_dwordx2 v[202:203], v[6:7], off offset:2048
	global_load_dwordx2 v[44:45], v[10:11], off
	global_load_dwordx2 v[42:43], v[10:11], off offset:2048
	v_add_co_u32_e32 v6, vcc, 0x6c000, v196
	v_add_f64 v[4:5], v[4:5], v[0:1]
	v_accvgpr_read_b32 v0, a50
	v_addc_co_u32_e32 v7, vcc, 0, v197, vcc
	v_accvgpr_read_b32 v1, a51
	v_add_co_u32_e32 v2, vcc, 0x6d000, v196
	v_add_f64 v[0:1], v[4:5], v[0:1]
	v_addc_co_u32_e32 v3, vcc, 0, v197, vcc
	v_add_f64 v[0:1], v[0:1], v[218:219]
	v_accvgpr_read_b32 v4, a52
	global_load_dwordx2 v[192:193], v[6:7], off
	global_load_dwordx2 v[210:211], v[6:7], off offset:2048
	global_load_dwordx2 v[40:41], v[2:3], off
	global_load_dwordx2 v[38:39], v[2:3], off offset:2048
	v_add_co_u32_e32 v2, vcc, 0x6e000, v196
	v_add_f64 v[0:1], v[0:1], v[200:201]
	v_accvgpr_read_b32 v5, a53
	v_addc_co_u32_e32 v3, vcc, 0, v197, vcc
	v_add_f64 v[0:1], v[0:1], v[4:5]
	v_accvgpr_read_b32 v4, a54
	v_add_co_u32_e32 v200, vcc, 0x6f000, v196
	v_accvgpr_read_b32 v5, a55
	v_addc_co_u32_e32 v201, vcc, 0, v197, vcc
	v_add_f64 v[0:1], v[0:1], v[4:5]
	global_load_dwordx2 v[218:219], v[2:3], off
	global_load_dwordx2 v[34:35], v[2:3], off offset:2048
	global_load_dwordx2 v[36:37], v[200:201], off
	s_nop 0
	global_load_dwordx2 v[200:201], v[200:201], off offset:2048
	v_add_f64 v[0:1], v[0:1], v[226:227]
	v_accvgpr_read_b32 v2, a56
	v_add_f64 v[0:1], v[0:1], v[208:209]
	v_accvgpr_read_b32 v3, a57
	v_add_f64 v[0:1], v[0:1], v[2:3]
	v_accvgpr_read_b32 v2, a58
	v_accvgpr_read_b32 v3, a59
	v_add_f64 v[0:1], v[0:1], v[2:3]
	v_add_f64 v[0:1], v[0:1], v[234:235]
	v_accvgpr_read_b32 v2, a60
	v_add_f64 v[0:1], v[0:1], v[216:217]
	v_accvgpr_read_b32 v3, a61
	v_add_f64 v[0:1], v[0:1], v[2:3]
	v_accvgpr_read_b32 v2, a62
	v_accvgpr_read_b32 v3, a63
	v_add_f64 v[0:1], v[0:1], v[2:3]
	v_add_f64 v[0:1], v[0:1], v[242:243]
	v_accvgpr_read_b32 v2, a64
	v_add_f64 v[0:1], v[0:1], v[224:225]
	v_accvgpr_read_b32 v3, a65
	v_add_f64 v[0:1], v[0:1], v[2:3]
	v_accvgpr_read_b32 v2, a66
	v_accvgpr_read_b32 v3, a67
	v_add_f64 v[0:1], v[0:1], v[2:3]
	v_add_f64 v[0:1], v[0:1], v[246:247]
	v_accvgpr_read_b32 v2, a68
	v_add_f64 v[0:1], v[0:1], v[232:233]
	v_accvgpr_read_b32 v3, a69
	v_add_f64 v[0:1], v[0:1], v[2:3]
	v_accvgpr_read_b32 v2, a70
	v_accvgpr_read_b32 v3, a71
	v_add_f64 v[0:1], v[0:1], v[2:3]
	v_add_f64 v[0:1], v[0:1], v[230:231]
	v_accvgpr_read_b32 v2, a72
	v_add_f64 v[0:1], v[0:1], v[240:241]
	v_accvgpr_read_b32 v3, a73
	v_add_f64 v[0:1], v[0:1], v[2:3]
	v_accvgpr_read_b32 v2, a74
	v_accvgpr_read_b32 v3, a75
	v_add_f64 v[0:1], v[0:1], v[2:3]
	v_add_f64 v[0:1], v[0:1], v[238:239]
	v_accvgpr_read_b32 v2, a76
	v_add_f64 v[0:1], v[0:1], v[244:245]
	v_accvgpr_read_b32 v3, a77
	v_add_f64 v[0:1], v[0:1], v[2:3]
	v_accvgpr_read_b32 v2, a78
	v_accvgpr_read_b32 v3, a79
	v_add_f64 v[0:1], v[0:1], v[2:3]
	v_add_f64 v[0:1], v[0:1], v[198:199]
	v_accvgpr_read_b32 v2, a80
	v_add_f64 v[0:1], v[0:1], v[222:223]
	v_accvgpr_read_b32 v3, a81
	v_add_f64 v[0:1], v[0:1], v[2:3]
	v_accvgpr_read_b32 v2, a82
	v_accvgpr_read_b32 v3, a83
	v_add_f64 v[0:1], v[0:1], v[2:3]
	v_add_f64 v[0:1], v[0:1], v[206:207]
	v_accvgpr_read_b32 v2, a84
	v_add_f64 v[0:1], v[0:1], v[236:237]
	v_accvgpr_read_b32 v3, a85
	v_add_f64 v[0:1], v[0:1], v[2:3]
	v_accvgpr_read_b32 v2, a86
	v_accvgpr_read_b32 v3, a87
	v_add_f64 v[0:1], v[0:1], v[2:3]
	v_add_f64 v[0:1], v[0:1], v[228:229]
	v_add_f64 v[0:1], v[0:1], v[220:221]
	v_accvgpr_read_b32 v221, a89
	v_accvgpr_read_b32 v220, a88
	v_add_f64 v[0:1], v[0:1], v[220:221]
	v_accvgpr_read_b32 v221, a91
	v_accvgpr_read_b32 v220, a90
	v_add_f64 v[0:1], v[0:1], v[220:221]
	v_add_f64 v[0:1], v[0:1], v[214:215]
	;; [unrolled: 1-line block ×8, first 2 shown]
	v_add_co_u32_e32 v226, vcc, 0x70000, v196
	v_add_f64 v[0:1], v[0:1], v[188:189]
	v_addc_co_u32_e32 v227, vcc, 0, v197, vcc
	v_add_f64 v[0:1], v[0:1], v[172:173]
	v_add_co_u32_e32 v208, vcc, 0x71000, v196
	v_add_f64 v[0:1], v[0:1], v[158:159]
	v_addc_co_u32_e32 v209, vcc, 0, v197, vcc
	s_waitcnt vmcnt(62)
	v_add_f64 v[0:1], v[0:1], v[166:167]
	global_load_dwordx2 v[30:31], v[226:227], off
	s_nop 0
	global_load_dwordx2 v[226:227], v[226:227], off offset:2048
	s_nop 0
	global_load_dwordx2 v[32:33], v[208:209], off
	s_nop 0
	global_load_dwordx2 v[208:209], v[208:209], off offset:2048
	v_add_co_u32_e32 v234, vcc, 0x72000, v196
	v_add_f64 v[0:1], v[0:1], v[164:165]
	v_addc_co_u32_e32 v235, vcc, 0, v197, vcc
	v_add_f64 v[0:1], v[0:1], v[148:149]
	v_add_co_u32_e32 v216, vcc, 0x73000, v196
	v_add_f64 v[0:1], v[0:1], v[150:151]
	v_addc_co_u32_e32 v217, vcc, 0, v197, vcc
	v_add_f64 v[0:1], v[0:1], v[142:143]
	global_load_dwordx2 v[26:27], v[234:235], off
	s_nop 0
	global_load_dwordx2 v[234:235], v[234:235], off offset:2048
	s_nop 0
	global_load_dwordx2 v[28:29], v[216:217], off
	s_nop 0
	global_load_dwordx2 v[216:217], v[216:217], off offset:2048
	v_add_co_u32_e32 v242, vcc, 0x74000, v196
	v_add_f64 v[0:1], v[0:1], v[156:157]
	v_addc_co_u32_e32 v243, vcc, 0, v197, vcc
	v_add_f64 v[0:1], v[0:1], v[140:141]
	v_add_co_u32_e32 v224, vcc, 0x75000, v196
	v_add_f64 v[0:1], v[0:1], v[128:129]
	v_addc_co_u32_e32 v225, vcc, 0, v197, vcc
	;; [unrolled: 15-line block ×4, first 2 shown]
	s_waitcnt vmcnt(62)
	v_add_f64 v[0:1], v[108:109], v[0:1]
	global_load_dwordx2 v[14:15], v[230:231], off
	s_nop 0
	global_load_dwordx2 v[230:231], v[230:231], off offset:2048
	s_nop 0
	global_load_dwordx2 v[16:17], v[240:241], off
	s_nop 0
	global_load_dwordx2 v[240:241], v[240:241], off offset:2048
	v_add_co_u32_e32 v238, vcc, 0x7a000, v196
	v_add_f64 v[0:1], v[106:107], v[0:1]
	v_addc_co_u32_e32 v239, vcc, 0, v197, vcc
	v_add_f64 v[0:1], v[92:93], v[0:1]
	v_add_co_u32_e32 v244, vcc, 0x7b000, v196
	v_add_f64 v[0:1], v[96:97], v[0:1]
	v_addc_co_u32_e32 v245, vcc, 0, v197, vcc
	v_add_f64 v[0:1], v[90:91], v[0:1]
	global_load_dwordx2 v[10:11], v[238:239], off
	s_nop 0
	global_load_dwordx2 v[238:239], v[238:239], off offset:2048
	s_nop 0
	global_load_dwordx2 v[12:13], v[244:245], off
	s_nop 0
	global_load_dwordx2 v[244:245], v[244:245], off offset:2048
	v_add_co_u32_e32 v198, vcc, 0x7c000, v196
	v_add_f64 v[0:1], v[98:99], v[0:1]
	v_addc_co_u32_e32 v199, vcc, 0, v197, vcc
	v_add_f64 v[0:1], v[94:95], v[0:1]
	v_add_co_u32_e32 v222, vcc, 0x7d000, v196
	v_add_f64 v[0:1], v[104:105], v[0:1]
	v_addc_co_u32_e32 v223, vcc, 0, v197, vcc
	;; [unrolled: 15-line block ×3, first 2 shown]
	v_add_f64 v[0:1], v[84:85], v[0:1]
	global_load_dwordx2 v[2:3], v[206:207], off
	s_nop 0
	global_load_dwordx2 v[206:207], v[206:207], off offset:2048
	s_nop 0
	global_load_dwordx2 v[4:5], v[236:237], off
	s_nop 0
	global_load_dwordx2 v[236:237], v[236:237], off offset:2048
	v_add_f64 v[0:1], v[82:83], v[0:1]
	v_add_f64 v[0:1], v[110:111], v[0:1]
	v_add_f64 v[0:1], v[120:121], v[0:1]
	s_waitcnt vmcnt(62)
	v_add_f64 v[0:1], v[80:81], v[0:1]
	v_add_f64 v[0:1], v[78:79], v[0:1]
	;; [unrolled: 1-line block ×16, first 2 shown]
	s_waitcnt vmcnt(61)
	v_add_f64 v[0:1], v[64:65], v[0:1]
	s_waitcnt vmcnt(60)
	v_add_f64 v[0:1], v[62:63], v[0:1]
	;; [unrolled: 2-line block ×62, first 2 shown]
	v_mbcnt_lo_u32_b32 v0, -1, 0
	v_mbcnt_hi_u32_b32 v1, -1, v0
	v_mov_b32_dpp v4, v2 quad_perm:[1,0,3,2] row_mask:0xf bank_mask:0xf
	v_mov_b32_dpp v5, v3 quad_perm:[1,0,3,2] row_mask:0xf bank_mask:0xf
	v_add_f64 v[2:3], v[2:3], v[4:5]
	v_bfrev_b32_e32 v0, 0.5
	v_lshl_or_b32 v0, v1, 2, v0
	v_mov_b32_dpp v4, v2 quad_perm:[2,3,0,1] row_mask:0xf bank_mask:0xf
	v_mov_b32_dpp v5, v3 quad_perm:[2,3,0,1] row_mask:0xf bank_mask:0xf
	v_add_f64 v[2:3], v[2:3], v[4:5]
	v_cmp_eq_u32_e32 vcc, 0, v1
	s_nop 0
	v_mov_b32_dpp v4, v2 row_ror:4 row_mask:0xf bank_mask:0xf
	v_mov_b32_dpp v5, v3 row_ror:4 row_mask:0xf bank_mask:0xf
	v_add_f64 v[2:3], v[2:3], v[4:5]
	s_nop 1
	v_mov_b32_dpp v4, v2 row_ror:8 row_mask:0xf bank_mask:0xf
	v_mov_b32_dpp v5, v3 row_ror:8 row_mask:0xf bank_mask:0xf
	v_add_f64 v[2:3], v[2:3], v[4:5]
	s_nop 1
	v_mov_b32_dpp v4, v2 row_bcast:15 row_mask:0xf bank_mask:0xf
	v_mov_b32_dpp v5, v3 row_bcast:15 row_mask:0xf bank_mask:0xf
	v_add_f64 v[2:3], v[2:3], v[4:5]
	s_nop 1
	v_mov_b32_dpp v4, v2 row_bcast:31 row_mask:0xf bank_mask:0xf
	v_mov_b32_dpp v5, v3 row_bcast:31 row_mask:0xf bank_mask:0xf
	v_add_f64 v[2:3], v[2:3], v[4:5]
	ds_bpermute_b32 v4, v0, v2
	ds_bpermute_b32 v5, v0, v3
	s_and_saveexec_b64 s[2:3], vcc
	s_cbranch_execz .LBB4_3
; %bb.2:
	v_lshrrev_b32_e32 v0, 3, v248
	v_and_b32_e32 v0, 24, v0
	s_waitcnt lgkmcnt(0)
	ds_write_b64 v0, v[4:5]
.LBB4_3:
	s_or_b64 exec, exec, s[2:3]
	v_cmp_gt_u32_e32 vcc, 64, v248
	s_waitcnt lgkmcnt(0)
	s_barrier
	s_and_saveexec_b64 s[2:3], vcc
	s_cbranch_execz .LBB4_5
; %bb.4:
	v_and_b32_e32 v0, 3, v1
	v_lshlrev_b32_e32 v2, 3, v0
	ds_read_b64 v[2:3], v2
	v_cmp_ne_u32_e32 vcc, 3, v0
	v_addc_co_u32_e32 v4, vcc, 0, v1, vcc
	v_lshlrev_b32_e32 v5, 2, v4
	s_waitcnt lgkmcnt(0)
	ds_bpermute_b32 v4, v5, v2
	ds_bpermute_b32 v5, v5, v3
	v_cmp_gt_u32_e32 vcc, 2, v0
	v_cndmask_b32_e64 v0, 0, 1, vcc
	v_lshlrev_b32_e32 v0, 1, v0
	v_add_lshl_u32 v1, v0, v1, 2
	s_waitcnt lgkmcnt(0)
	v_add_f64 v[2:3], v[2:3], v[4:5]
	ds_bpermute_b32 v0, v1, v2
	ds_bpermute_b32 v1, v1, v3
	s_waitcnt lgkmcnt(0)
	v_add_f64 v[4:5], v[2:3], v[0:1]
.LBB4_5:
	s_or_b64 exec, exec, s[2:3]
	s_branch .LBB4_526
.LBB4_6:
                                        ; implicit-def: $vgpr4_vgpr5
	s_cbranch_execz .LBB4_526
; %bb.7:
	v_readlane_b32 s4, v249, 0
	v_readlane_b32 s6, v249, 2
	s_sub_i32 s33, s6, s0
	v_cmp_gt_u32_e32 vcc, s33, v248
	v_readlane_b32 s5, v249, 1
	v_readlane_b32 s7, v249, 3
	;; [unrolled: 1-line block ×6, first 2 shown]
                                        ; implicit-def: $vgpr4_vgpr5
	s_and_saveexec_b64 s[0:1], vcc
	s_cbranch_execz .LBB4_9
; %bb.8:
	global_load_dwordx2 v[4:5], v[196:197], off
.LBB4_9:
	s_or_b64 exec, exec, s[0:1]
	v_or_b32_e32 v0, 0x100, v248
	v_cmp_gt_u32_e64 s[2:3], s33, v0
                                        ; implicit-def: $vgpr2_vgpr3
	s_mov_b64 s[0:1], exec
	v_writelane_b32 v249, s2, 10
	v_writelane_b32 v249, s3, 11
	s_and_b64 s[2:3], s[0:1], s[2:3]
	s_mov_b64 exec, s[2:3]
	s_cbranch_execz .LBB4_11
; %bb.10:
	global_load_dwordx2 v[2:3], v[196:197], off offset:2048
.LBB4_11:
	s_or_b64 exec, exec, s[0:1]
	v_or_b32_e32 v0, 0x200, v248
	v_cmp_gt_u32_e64 s[2:3], s33, v0
                                        ; implicit-def: $vgpr0_vgpr1
                                        ; kill: killed $vgpr0_vgpr1
	s_mov_b64 s[0:1], exec
	v_writelane_b32 v249, s2, 12
	v_writelane_b32 v249, s3, 13
	s_and_b64 s[2:3], s[0:1], s[2:3]
	s_mov_b64 exec, s[2:3]
	s_cbranch_execz .LBB4_13
; %bb.12:
	v_add_co_u32_e32 v6, vcc, 0x1000, v196
	v_addc_co_u32_e32 v7, vcc, 0, v197, vcc
	global_load_dwordx2 v[0:1], v[6:7], off
	s_waitcnt vmcnt(0)
	buffer_store_dword v0, off, s[96:99], 0 ; 4-byte Folded Spill
	s_nop 0
	buffer_store_dword v1, off, s[96:99], 0 offset:4 ; 4-byte Folded Spill
.LBB4_13:
	s_or_b64 exec, exec, s[0:1]
	v_or_b32_e32 v0, 0x300, v248
	v_cmp_gt_u32_e64 s[2:3], s33, v0
                                        ; implicit-def: $vgpr0_vgpr1
                                        ; kill: killed $vgpr0_vgpr1
	s_mov_b64 s[0:1], exec
	v_writelane_b32 v249, s2, 14
	v_writelane_b32 v249, s3, 15
	s_and_b64 s[2:3], s[0:1], s[2:3]
	s_mov_b64 exec, s[2:3]
	s_cbranch_execz .LBB4_15
; %bb.14:
	v_add_co_u32_e32 v6, vcc, 0x1000, v196
	v_addc_co_u32_e32 v7, vcc, 0, v197, vcc
	global_load_dwordx2 v[0:1], v[6:7], off offset:2048
	s_waitcnt vmcnt(0)
	buffer_store_dword v0, off, s[96:99], 0 offset:8 ; 4-byte Folded Spill
	s_nop 0
	buffer_store_dword v1, off, s[96:99], 0 offset:12 ; 4-byte Folded Spill
.LBB4_15:
	s_or_b64 exec, exec, s[0:1]
	v_or_b32_e32 v0, 0x400, v248
	v_cmp_gt_u32_e64 s[2:3], s33, v0
                                        ; implicit-def: $vgpr0_vgpr1
                                        ; kill: killed $vgpr0_vgpr1
	s_mov_b64 s[0:1], exec
	v_writelane_b32 v249, s2, 16
	v_writelane_b32 v249, s3, 17
	s_and_b64 s[2:3], s[0:1], s[2:3]
	s_mov_b64 exec, s[2:3]
	s_cbranch_execz .LBB4_17
; %bb.16:
	v_add_co_u32_e32 v6, vcc, 0x2000, v196
	v_addc_co_u32_e32 v7, vcc, 0, v197, vcc
	global_load_dwordx2 v[0:1], v[6:7], off
	s_waitcnt vmcnt(0)
	buffer_store_dword v0, off, s[96:99], 0 offset:16 ; 4-byte Folded Spill
	s_nop 0
	buffer_store_dword v1, off, s[96:99], 0 offset:20 ; 4-byte Folded Spill
.LBB4_17:
	s_or_b64 exec, exec, s[0:1]
	v_or_b32_e32 v0, 0x500, v248
	v_cmp_gt_u32_e64 s[2:3], s33, v0
                                        ; implicit-def: $vgpr0_vgpr1
                                        ; kill: killed $vgpr0_vgpr1
	s_mov_b64 s[0:1], exec
	v_writelane_b32 v249, s2, 18
	v_writelane_b32 v249, s3, 19
	s_and_b64 s[2:3], s[0:1], s[2:3]
	s_mov_b64 exec, s[2:3]
	s_cbranch_execz .LBB4_19
; %bb.18:
	v_add_co_u32_e32 v6, vcc, 0x2000, v196
	v_addc_co_u32_e32 v7, vcc, 0, v197, vcc
	global_load_dwordx2 v[0:1], v[6:7], off offset:2048
	s_waitcnt vmcnt(0)
	buffer_store_dword v0, off, s[96:99], 0 offset:24 ; 4-byte Folded Spill
	s_nop 0
	buffer_store_dword v1, off, s[96:99], 0 offset:28 ; 4-byte Folded Spill
.LBB4_19:
	s_or_b64 exec, exec, s[0:1]
	v_or_b32_e32 v0, 0x600, v248
	v_cmp_gt_u32_e64 s[2:3], s33, v0
                                        ; implicit-def: $vgpr0_vgpr1
                                        ; kill: killed $vgpr0_vgpr1
	s_mov_b64 s[0:1], exec
	v_writelane_b32 v249, s2, 20
	v_writelane_b32 v249, s3, 21
	s_and_b64 s[2:3], s[0:1], s[2:3]
	s_mov_b64 exec, s[2:3]
	s_cbranch_execz .LBB4_21
; %bb.20:
	v_add_co_u32_e32 v6, vcc, 0x3000, v196
	v_addc_co_u32_e32 v7, vcc, 0, v197, vcc
	global_load_dwordx2 v[0:1], v[6:7], off
	s_waitcnt vmcnt(0)
	buffer_store_dword v0, off, s[96:99], 0 offset:32 ; 4-byte Folded Spill
	s_nop 0
	buffer_store_dword v1, off, s[96:99], 0 offset:36 ; 4-byte Folded Spill
.LBB4_21:
	s_or_b64 exec, exec, s[0:1]
	v_or_b32_e32 v0, 0x700, v248
	v_cmp_gt_u32_e64 s[2:3], s33, v0
                                        ; implicit-def: $vgpr0_vgpr1
                                        ; kill: killed $vgpr0_vgpr1
	s_mov_b64 s[0:1], exec
	v_writelane_b32 v249, s2, 22
	v_writelane_b32 v249, s3, 23
	s_and_b64 s[2:3], s[0:1], s[2:3]
	s_mov_b64 exec, s[2:3]
	s_cbranch_execz .LBB4_23
; %bb.22:
	v_add_co_u32_e32 v6, vcc, 0x3000, v196
	v_addc_co_u32_e32 v7, vcc, 0, v197, vcc
	global_load_dwordx2 v[0:1], v[6:7], off offset:2048
	s_waitcnt vmcnt(0)
	buffer_store_dword v0, off, s[96:99], 0 offset:40 ; 4-byte Folded Spill
	s_nop 0
	buffer_store_dword v1, off, s[96:99], 0 offset:44 ; 4-byte Folded Spill
.LBB4_23:
	s_or_b64 exec, exec, s[0:1]
	v_or_b32_e32 v0, 0x800, v248
	v_cmp_gt_u32_e64 s[2:3], s33, v0
                                        ; implicit-def: $agpr12_agpr13
	s_mov_b64 s[0:1], exec
	v_writelane_b32 v249, s2, 24
	v_writelane_b32 v249, s3, 25
	s_and_b64 s[2:3], s[0:1], s[2:3]
	s_mov_b64 exec, s[2:3]
	s_cbranch_execz .LBB4_25
; %bb.24:
	v_add_co_u32_e32 v6, vcc, 0x4000, v196
	v_addc_co_u32_e32 v7, vcc, 0, v197, vcc
	global_load_dwordx2 a[12:13], v[6:7], off
.LBB4_25:
	s_or_b64 exec, exec, s[0:1]
	v_or_b32_e32 v0, 0x900, v248
	v_cmp_gt_u32_e64 s[2:3], s33, v0
                                        ; implicit-def: $agpr14_agpr15
	s_mov_b64 s[0:1], exec
	v_writelane_b32 v249, s2, 26
	v_writelane_b32 v249, s3, 27
	s_and_b64 s[2:3], s[0:1], s[2:3]
	s_mov_b64 exec, s[2:3]
	s_cbranch_execz .LBB4_27
; %bb.26:
	v_add_co_u32_e32 v6, vcc, 0x4000, v196
	v_addc_co_u32_e32 v7, vcc, 0, v197, vcc
	global_load_dwordx2 a[14:15], v[6:7], off offset:2048
.LBB4_27:
	s_or_b64 exec, exec, s[0:1]
	v_or_b32_e32 v0, 0xa00, v248
	v_cmp_gt_u32_e64 s[2:3], s33, v0
                                        ; implicit-def: $agpr16_agpr17
	s_mov_b64 s[0:1], exec
	v_writelane_b32 v249, s2, 28
	v_writelane_b32 v249, s3, 29
	s_and_b64 s[2:3], s[0:1], s[2:3]
	s_mov_b64 exec, s[2:3]
	s_cbranch_execz .LBB4_29
; %bb.28:
	v_add_co_u32_e32 v6, vcc, 0x5000, v196
	v_addc_co_u32_e32 v7, vcc, 0, v197, vcc
	global_load_dwordx2 a[16:17], v[6:7], off
.LBB4_29:
	s_or_b64 exec, exec, s[0:1]
	v_or_b32_e32 v0, 0xb00, v248
	v_cmp_gt_u32_e64 s[2:3], s33, v0
                                        ; implicit-def: $agpr18_agpr19
	s_mov_b64 s[0:1], exec
	v_writelane_b32 v249, s2, 30
	v_writelane_b32 v249, s3, 31
	s_and_b64 s[2:3], s[0:1], s[2:3]
	s_mov_b64 exec, s[2:3]
	s_cbranch_execz .LBB4_31
; %bb.30:
	v_add_co_u32_e32 v6, vcc, 0x5000, v196
	v_addc_co_u32_e32 v7, vcc, 0, v197, vcc
	global_load_dwordx2 a[18:19], v[6:7], off offset:2048
.LBB4_31:
	s_or_b64 exec, exec, s[0:1]
	v_or_b32_e32 v0, 0xc00, v248
	v_cmp_gt_u32_e64 s[2:3], s33, v0
                                        ; implicit-def: $agpr20_agpr21
	s_mov_b64 s[0:1], exec
	v_writelane_b32 v249, s2, 32
	v_writelane_b32 v249, s3, 33
	s_and_b64 s[2:3], s[0:1], s[2:3]
	s_mov_b64 exec, s[2:3]
	s_cbranch_execz .LBB4_33
; %bb.32:
	v_add_co_u32_e32 v6, vcc, 0x6000, v196
	v_addc_co_u32_e32 v7, vcc, 0, v197, vcc
	global_load_dwordx2 a[20:21], v[6:7], off
.LBB4_33:
	s_or_b64 exec, exec, s[0:1]
	v_or_b32_e32 v0, 0xd00, v248
	v_cmp_gt_u32_e64 s[2:3], s33, v0
                                        ; implicit-def: $agpr22_agpr23
	s_mov_b64 s[0:1], exec
	v_writelane_b32 v249, s2, 34
	v_writelane_b32 v249, s3, 35
	s_and_b64 s[2:3], s[0:1], s[2:3]
	s_mov_b64 exec, s[2:3]
	s_cbranch_execz .LBB4_35
; %bb.34:
	v_add_co_u32_e32 v6, vcc, 0x6000, v196
	v_addc_co_u32_e32 v7, vcc, 0, v197, vcc
	global_load_dwordx2 a[22:23], v[6:7], off offset:2048
.LBB4_35:
	s_or_b64 exec, exec, s[0:1]
	v_or_b32_e32 v0, 0xe00, v248
	v_cmp_gt_u32_e64 s[2:3], s33, v0
                                        ; implicit-def: $agpr24_agpr25
	s_mov_b64 s[0:1], exec
	v_writelane_b32 v249, s2, 36
	v_writelane_b32 v249, s3, 37
	s_and_b64 s[2:3], s[0:1], s[2:3]
	s_mov_b64 exec, s[2:3]
	s_cbranch_execz .LBB4_37
; %bb.36:
	v_add_co_u32_e32 v6, vcc, 0x7000, v196
	v_addc_co_u32_e32 v7, vcc, 0, v197, vcc
	global_load_dwordx2 a[24:25], v[6:7], off
.LBB4_37:
	s_or_b64 exec, exec, s[0:1]
	v_or_b32_e32 v0, 0xf00, v248
	v_cmp_gt_u32_e64 s[2:3], s33, v0
                                        ; implicit-def: $agpr26_agpr27
	s_mov_b64 s[0:1], exec
	v_writelane_b32 v249, s2, 38
	v_writelane_b32 v249, s3, 39
	s_and_b64 s[2:3], s[0:1], s[2:3]
	s_mov_b64 exec, s[2:3]
	s_cbranch_execz .LBB4_39
; %bb.38:
	v_add_co_u32_e32 v6, vcc, 0x7000, v196
	v_addc_co_u32_e32 v7, vcc, 0, v197, vcc
	global_load_dwordx2 a[26:27], v[6:7], off offset:2048
.LBB4_39:
	s_or_b64 exec, exec, s[0:1]
	v_or_b32_e32 v0, 0x1000, v248
	v_cmp_gt_u32_e64 s[2:3], s33, v0
                                        ; implicit-def: $agpr28_agpr29
	s_mov_b64 s[0:1], exec
	v_writelane_b32 v249, s2, 40
	v_writelane_b32 v249, s3, 41
	s_and_b64 s[2:3], s[0:1], s[2:3]
	s_mov_b64 exec, s[2:3]
	s_cbranch_execz .LBB4_41
; %bb.40:
	v_add_co_u32_e32 v6, vcc, 0x8000, v196
	v_addc_co_u32_e32 v7, vcc, 0, v197, vcc
	global_load_dwordx2 a[28:29], v[6:7], off
.LBB4_41:
	s_or_b64 exec, exec, s[0:1]
	v_or_b32_e32 v0, 0x1100, v248
	v_cmp_gt_u32_e64 s[2:3], s33, v0
                                        ; implicit-def: $agpr30_agpr31
	s_mov_b64 s[0:1], exec
	v_writelane_b32 v249, s2, 42
	v_writelane_b32 v249, s3, 43
	s_and_b64 s[2:3], s[0:1], s[2:3]
	s_mov_b64 exec, s[2:3]
	s_cbranch_execz .LBB4_43
; %bb.42:
	v_add_co_u32_e32 v6, vcc, 0x8000, v196
	v_addc_co_u32_e32 v7, vcc, 0, v197, vcc
	global_load_dwordx2 a[30:31], v[6:7], off offset:2048
.LBB4_43:
	s_or_b64 exec, exec, s[0:1]
	v_or_b32_e32 v0, 0x1200, v248
	v_cmp_gt_u32_e64 s[2:3], s33, v0
                                        ; implicit-def: $agpr32_agpr33
	s_mov_b64 s[0:1], exec
	v_writelane_b32 v249, s2, 44
	v_writelane_b32 v249, s3, 45
	s_and_b64 s[2:3], s[0:1], s[2:3]
	s_mov_b64 exec, s[2:3]
	s_cbranch_execz .LBB4_45
; %bb.44:
	v_add_co_u32_e32 v6, vcc, 0x9000, v196
	v_addc_co_u32_e32 v7, vcc, 0, v197, vcc
	global_load_dwordx2 a[32:33], v[6:7], off
.LBB4_45:
	s_or_b64 exec, exec, s[0:1]
	v_or_b32_e32 v0, 0x1300, v248
	v_cmp_gt_u32_e64 s[2:3], s33, v0
                                        ; implicit-def: $agpr34_agpr35
	s_mov_b64 s[0:1], exec
	v_writelane_b32 v249, s2, 46
	v_writelane_b32 v249, s3, 47
	s_and_b64 s[2:3], s[0:1], s[2:3]
	s_mov_b64 exec, s[2:3]
	s_cbranch_execz .LBB4_47
; %bb.46:
	v_add_co_u32_e32 v6, vcc, 0x9000, v196
	v_addc_co_u32_e32 v7, vcc, 0, v197, vcc
	global_load_dwordx2 a[34:35], v[6:7], off offset:2048
.LBB4_47:
	s_or_b64 exec, exec, s[0:1]
	v_or_b32_e32 v0, 0x1400, v248
	v_cmp_gt_u32_e64 s[2:3], s33, v0
                                        ; implicit-def: $agpr36_agpr37
	s_mov_b64 s[0:1], exec
	v_writelane_b32 v249, s2, 48
	v_writelane_b32 v249, s3, 49
	s_and_b64 s[2:3], s[0:1], s[2:3]
	s_mov_b64 exec, s[2:3]
	s_cbranch_execz .LBB4_49
; %bb.48:
	v_add_co_u32_e32 v6, vcc, 0xa000, v196
	v_addc_co_u32_e32 v7, vcc, 0, v197, vcc
	global_load_dwordx2 a[36:37], v[6:7], off
.LBB4_49:
	s_or_b64 exec, exec, s[0:1]
	v_or_b32_e32 v0, 0x1500, v248
	v_cmp_gt_u32_e64 s[2:3], s33, v0
                                        ; implicit-def: $agpr38_agpr39
	s_mov_b64 s[0:1], exec
	v_writelane_b32 v249, s2, 50
	v_writelane_b32 v249, s3, 51
	s_and_b64 s[2:3], s[0:1], s[2:3]
	s_mov_b64 exec, s[2:3]
	s_cbranch_execz .LBB4_51
; %bb.50:
	v_add_co_u32_e32 v6, vcc, 0xa000, v196
	v_addc_co_u32_e32 v7, vcc, 0, v197, vcc
	global_load_dwordx2 a[38:39], v[6:7], off offset:2048
.LBB4_51:
	s_or_b64 exec, exec, s[0:1]
	v_or_b32_e32 v0, 0x1600, v248
	v_cmp_gt_u32_e64 s[2:3], s33, v0
                                        ; implicit-def: $agpr40_agpr41
	s_mov_b64 s[0:1], exec
	v_writelane_b32 v249, s2, 52
	v_writelane_b32 v249, s3, 53
	s_and_b64 s[2:3], s[0:1], s[2:3]
	s_mov_b64 exec, s[2:3]
	s_cbranch_execz .LBB4_53
; %bb.52:
	v_add_co_u32_e32 v6, vcc, 0xb000, v196
	v_addc_co_u32_e32 v7, vcc, 0, v197, vcc
	global_load_dwordx2 a[40:41], v[6:7], off
.LBB4_53:
	s_or_b64 exec, exec, s[0:1]
	v_or_b32_e32 v0, 0x1700, v248
	v_cmp_gt_u32_e64 s[2:3], s33, v0
                                        ; implicit-def: $agpr42_agpr43
	s_mov_b64 s[0:1], exec
	v_writelane_b32 v249, s2, 54
	v_writelane_b32 v249, s3, 55
	s_and_b64 s[2:3], s[0:1], s[2:3]
	s_mov_b64 exec, s[2:3]
	s_cbranch_execz .LBB4_55
; %bb.54:
	v_add_co_u32_e32 v6, vcc, 0xb000, v196
	v_addc_co_u32_e32 v7, vcc, 0, v197, vcc
	global_load_dwordx2 a[42:43], v[6:7], off offset:2048
.LBB4_55:
	s_or_b64 exec, exec, s[0:1]
	v_or_b32_e32 v0, 0x1800, v248
	v_cmp_gt_u32_e64 s[2:3], s33, v0
                                        ; implicit-def: $agpr44_agpr45
	s_mov_b64 s[0:1], exec
	v_writelane_b32 v249, s2, 56
	v_writelane_b32 v249, s3, 57
	s_and_b64 s[2:3], s[0:1], s[2:3]
	s_mov_b64 exec, s[2:3]
	s_cbranch_execz .LBB4_57
; %bb.56:
	v_add_co_u32_e32 v6, vcc, 0xc000, v196
	v_addc_co_u32_e32 v7, vcc, 0, v197, vcc
	global_load_dwordx2 a[44:45], v[6:7], off
.LBB4_57:
	s_or_b64 exec, exec, s[0:1]
	v_or_b32_e32 v0, 0x1900, v248
	v_cmp_gt_u32_e64 s[2:3], s33, v0
                                        ; implicit-def: $agpr46_agpr47
	s_mov_b64 s[0:1], exec
	v_writelane_b32 v249, s2, 58
	v_writelane_b32 v249, s3, 59
	s_and_b64 s[2:3], s[0:1], s[2:3]
	s_mov_b64 exec, s[2:3]
	s_cbranch_execz .LBB4_59
; %bb.58:
	v_add_co_u32_e32 v6, vcc, 0xc000, v196
	v_addc_co_u32_e32 v7, vcc, 0, v197, vcc
	global_load_dwordx2 a[46:47], v[6:7], off offset:2048
.LBB4_59:
	s_or_b64 exec, exec, s[0:1]
	v_or_b32_e32 v0, 0x1a00, v248
	v_cmp_gt_u32_e64 s[2:3], s33, v0
                                        ; implicit-def: $agpr48_agpr49
	s_mov_b64 s[0:1], exec
	v_writelane_b32 v249, s2, 60
	v_writelane_b32 v249, s3, 61
	s_and_b64 s[2:3], s[0:1], s[2:3]
	s_mov_b64 exec, s[2:3]
	s_cbranch_execz .LBB4_61
; %bb.60:
	v_add_co_u32_e32 v6, vcc, 0xd000, v196
	v_addc_co_u32_e32 v7, vcc, 0, v197, vcc
	global_load_dwordx2 a[48:49], v[6:7], off
.LBB4_61:
	s_or_b64 exec, exec, s[0:1]
	v_or_b32_e32 v0, 0x1b00, v248
	v_cmp_gt_u32_e64 s[2:3], s33, v0
                                        ; implicit-def: $agpr50_agpr51
	s_mov_b64 s[0:1], exec
	v_writelane_b32 v249, s2, 62
	v_writelane_b32 v249, s3, 63
	s_and_b64 s[2:3], s[0:1], s[2:3]
	s_mov_b64 exec, s[2:3]
	s_cbranch_execz .LBB4_63
; %bb.62:
	v_add_co_u32_e32 v6, vcc, 0xd000, v196
	v_addc_co_u32_e32 v7, vcc, 0, v197, vcc
	global_load_dwordx2 a[50:51], v[6:7], off offset:2048
.LBB4_63:
	s_or_b64 exec, exec, s[0:1]
	v_or_b32_e32 v0, 0x1c00, v248
	v_cmp_gt_u32_e64 s[2:3], s33, v0
                                        ; implicit-def: $agpr52_agpr53
	s_mov_b64 s[0:1], exec
                                        ; implicit-def: $vgpr250 : SGPR spill to VGPR lane
	v_writelane_b32 v250, s2, 0
	v_writelane_b32 v250, s3, 1
	s_and_b64 s[2:3], s[0:1], s[2:3]
	s_mov_b64 exec, s[2:3]
	s_cbranch_execz .LBB4_65
; %bb.64:
	v_add_co_u32_e32 v6, vcc, 0xe000, v196
	v_addc_co_u32_e32 v7, vcc, 0, v197, vcc
	global_load_dwordx2 a[52:53], v[6:7], off
.LBB4_65:
	s_or_b64 exec, exec, s[0:1]
	v_or_b32_e32 v0, 0x1d00, v248
	v_cmp_gt_u32_e64 s[2:3], s33, v0
                                        ; implicit-def: $agpr54_agpr55
	s_mov_b64 s[0:1], exec
	v_writelane_b32 v250, s2, 2
	v_writelane_b32 v250, s3, 3
	s_and_b64 s[2:3], s[0:1], s[2:3]
	s_mov_b64 exec, s[2:3]
	s_cbranch_execz .LBB4_67
; %bb.66:
	v_add_co_u32_e32 v6, vcc, 0xe000, v196
	v_addc_co_u32_e32 v7, vcc, 0, v197, vcc
	global_load_dwordx2 a[54:55], v[6:7], off offset:2048
.LBB4_67:
	s_or_b64 exec, exec, s[0:1]
	v_or_b32_e32 v0, 0x1e00, v248
	v_cmp_gt_u32_e64 s[2:3], s33, v0
                                        ; implicit-def: $agpr56_agpr57
	s_mov_b64 s[0:1], exec
	v_writelane_b32 v250, s2, 4
	v_writelane_b32 v250, s3, 5
	s_and_b64 s[2:3], s[0:1], s[2:3]
	s_mov_b64 exec, s[2:3]
	s_cbranch_execz .LBB4_69
; %bb.68:
	v_add_co_u32_e32 v6, vcc, 0xf000, v196
	v_addc_co_u32_e32 v7, vcc, 0, v197, vcc
	global_load_dwordx2 a[56:57], v[6:7], off
.LBB4_69:
	s_or_b64 exec, exec, s[0:1]
	v_or_b32_e32 v0, 0x1f00, v248
	v_cmp_gt_u32_e64 s[2:3], s33, v0
                                        ; implicit-def: $agpr58_agpr59
	s_mov_b64 s[0:1], exec
	v_writelane_b32 v250, s2, 6
	v_writelane_b32 v250, s3, 7
	s_and_b64 s[2:3], s[0:1], s[2:3]
	s_mov_b64 exec, s[2:3]
	s_cbranch_execz .LBB4_71
; %bb.70:
	v_add_co_u32_e32 v6, vcc, 0xf000, v196
	v_addc_co_u32_e32 v7, vcc, 0, v197, vcc
	global_load_dwordx2 a[58:59], v[6:7], off offset:2048
.LBB4_71:
	s_or_b64 exec, exec, s[0:1]
	v_or_b32_e32 v0, 0x2000, v248
	v_cmp_gt_u32_e64 s[2:3], s33, v0
                                        ; implicit-def: $agpr60_agpr61
	s_mov_b64 s[0:1], exec
	v_writelane_b32 v250, s2, 8
	v_writelane_b32 v250, s3, 9
	s_and_b64 s[2:3], s[0:1], s[2:3]
	s_mov_b64 exec, s[2:3]
	s_cbranch_execz .LBB4_73
; %bb.72:
	v_add_co_u32_e32 v6, vcc, 0x10000, v196
	v_addc_co_u32_e32 v7, vcc, 0, v197, vcc
	global_load_dwordx2 a[60:61], v[6:7], off
.LBB4_73:
	s_or_b64 exec, exec, s[0:1]
	v_or_b32_e32 v0, 0x2100, v248
	v_cmp_gt_u32_e64 s[2:3], s33, v0
                                        ; implicit-def: $agpr62_agpr63
	s_mov_b64 s[0:1], exec
	v_writelane_b32 v250, s2, 10
	v_writelane_b32 v250, s3, 11
	s_and_b64 s[2:3], s[0:1], s[2:3]
	s_mov_b64 exec, s[2:3]
	s_cbranch_execz .LBB4_75
; %bb.74:
	v_add_co_u32_e32 v6, vcc, 0x10000, v196
	v_addc_co_u32_e32 v7, vcc, 0, v197, vcc
	global_load_dwordx2 a[62:63], v[6:7], off offset:2048
.LBB4_75:
	s_or_b64 exec, exec, s[0:1]
	v_or_b32_e32 v0, 0x2200, v248
	v_cmp_gt_u32_e64 s[2:3], s33, v0
                                        ; implicit-def: $agpr64_agpr65
	s_mov_b64 s[0:1], exec
	v_writelane_b32 v250, s2, 12
	v_writelane_b32 v250, s3, 13
	s_and_b64 s[2:3], s[0:1], s[2:3]
	s_mov_b64 exec, s[2:3]
	s_cbranch_execz .LBB4_77
; %bb.76:
	v_add_co_u32_e32 v6, vcc, 0x11000, v196
	v_addc_co_u32_e32 v7, vcc, 0, v197, vcc
	global_load_dwordx2 a[64:65], v[6:7], off
.LBB4_77:
	s_or_b64 exec, exec, s[0:1]
	v_or_b32_e32 v0, 0x2300, v248
	v_cmp_gt_u32_e64 s[2:3], s33, v0
                                        ; implicit-def: $agpr66_agpr67
	s_mov_b64 s[0:1], exec
	v_writelane_b32 v250, s2, 14
	v_writelane_b32 v250, s3, 15
	s_and_b64 s[2:3], s[0:1], s[2:3]
	s_mov_b64 exec, s[2:3]
	s_cbranch_execz .LBB4_79
; %bb.78:
	v_add_co_u32_e32 v6, vcc, 0x11000, v196
	v_addc_co_u32_e32 v7, vcc, 0, v197, vcc
	global_load_dwordx2 a[66:67], v[6:7], off offset:2048
.LBB4_79:
	s_or_b64 exec, exec, s[0:1]
	v_or_b32_e32 v0, 0x2400, v248
	v_cmp_gt_u32_e64 s[2:3], s33, v0
                                        ; implicit-def: $agpr68_agpr69
	s_mov_b64 s[0:1], exec
	v_writelane_b32 v250, s2, 16
	v_writelane_b32 v250, s3, 17
	s_and_b64 s[2:3], s[0:1], s[2:3]
	s_mov_b64 exec, s[2:3]
	s_cbranch_execz .LBB4_81
; %bb.80:
	v_add_co_u32_e32 v6, vcc, 0x12000, v196
	v_addc_co_u32_e32 v7, vcc, 0, v197, vcc
	global_load_dwordx2 a[68:69], v[6:7], off
.LBB4_81:
	s_or_b64 exec, exec, s[0:1]
	v_or_b32_e32 v0, 0x2500, v248
	v_cmp_gt_u32_e64 s[2:3], s33, v0
                                        ; implicit-def: $agpr70_agpr71
	s_mov_b64 s[0:1], exec
	v_writelane_b32 v250, s2, 18
	v_writelane_b32 v250, s3, 19
	s_and_b64 s[2:3], s[0:1], s[2:3]
	s_mov_b64 exec, s[2:3]
	s_cbranch_execz .LBB4_83
; %bb.82:
	v_add_co_u32_e32 v6, vcc, 0x12000, v196
	v_addc_co_u32_e32 v7, vcc, 0, v197, vcc
	global_load_dwordx2 a[70:71], v[6:7], off offset:2048
.LBB4_83:
	s_or_b64 exec, exec, s[0:1]
	v_or_b32_e32 v0, 0x2600, v248
	v_cmp_gt_u32_e64 s[2:3], s33, v0
                                        ; implicit-def: $agpr72_agpr73
	s_mov_b64 s[0:1], exec
	v_writelane_b32 v250, s2, 20
	v_writelane_b32 v250, s3, 21
	s_and_b64 s[2:3], s[0:1], s[2:3]
	s_mov_b64 exec, s[2:3]
	s_cbranch_execz .LBB4_85
; %bb.84:
	v_add_co_u32_e32 v6, vcc, 0x13000, v196
	v_addc_co_u32_e32 v7, vcc, 0, v197, vcc
	global_load_dwordx2 a[72:73], v[6:7], off
.LBB4_85:
	s_or_b64 exec, exec, s[0:1]
	v_or_b32_e32 v0, 0x2700, v248
	v_cmp_gt_u32_e64 s[2:3], s33, v0
                                        ; implicit-def: $agpr74_agpr75
	s_mov_b64 s[0:1], exec
	v_writelane_b32 v250, s2, 22
	v_writelane_b32 v250, s3, 23
	s_and_b64 s[2:3], s[0:1], s[2:3]
	s_mov_b64 exec, s[2:3]
	s_cbranch_execz .LBB4_87
; %bb.86:
	v_add_co_u32_e32 v6, vcc, 0x13000, v196
	v_addc_co_u32_e32 v7, vcc, 0, v197, vcc
	global_load_dwordx2 a[74:75], v[6:7], off offset:2048
.LBB4_87:
	s_or_b64 exec, exec, s[0:1]
	v_or_b32_e32 v0, 0x2800, v248
	v_cmp_gt_u32_e64 s[2:3], s33, v0
                                        ; implicit-def: $agpr76_agpr77
	s_mov_b64 s[0:1], exec
	v_writelane_b32 v250, s2, 24
	v_writelane_b32 v250, s3, 25
	s_and_b64 s[2:3], s[0:1], s[2:3]
	s_mov_b64 exec, s[2:3]
	s_cbranch_execz .LBB4_89
; %bb.88:
	v_add_co_u32_e32 v6, vcc, 0x14000, v196
	v_addc_co_u32_e32 v7, vcc, 0, v197, vcc
	global_load_dwordx2 a[76:77], v[6:7], off
.LBB4_89:
	s_or_b64 exec, exec, s[0:1]
	v_or_b32_e32 v0, 0x2900, v248
	v_cmp_gt_u32_e64 s[2:3], s33, v0
                                        ; implicit-def: $agpr78_agpr79
	s_mov_b64 s[0:1], exec
	v_writelane_b32 v250, s2, 26
	v_writelane_b32 v250, s3, 27
	s_and_b64 s[2:3], s[0:1], s[2:3]
	s_mov_b64 exec, s[2:3]
	s_cbranch_execz .LBB4_91
; %bb.90:
	v_add_co_u32_e32 v6, vcc, 0x14000, v196
	v_addc_co_u32_e32 v7, vcc, 0, v197, vcc
	global_load_dwordx2 a[78:79], v[6:7], off offset:2048
.LBB4_91:
	s_or_b64 exec, exec, s[0:1]
	v_or_b32_e32 v0, 0x2a00, v248
	v_cmp_gt_u32_e64 s[2:3], s33, v0
                                        ; implicit-def: $agpr80_agpr81
	s_mov_b64 s[0:1], exec
	v_writelane_b32 v250, s2, 28
	v_writelane_b32 v250, s3, 29
	s_and_b64 s[2:3], s[0:1], s[2:3]
	s_mov_b64 exec, s[2:3]
	s_cbranch_execz .LBB4_93
; %bb.92:
	v_add_co_u32_e32 v6, vcc, 0x15000, v196
	v_addc_co_u32_e32 v7, vcc, 0, v197, vcc
	global_load_dwordx2 a[80:81], v[6:7], off
.LBB4_93:
	s_or_b64 exec, exec, s[0:1]
	v_or_b32_e32 v0, 0x2b00, v248
	v_cmp_gt_u32_e64 s[2:3], s33, v0
                                        ; implicit-def: $agpr82_agpr83
	s_mov_b64 s[0:1], exec
	v_writelane_b32 v250, s2, 30
	v_writelane_b32 v250, s3, 31
	s_and_b64 s[2:3], s[0:1], s[2:3]
	s_mov_b64 exec, s[2:3]
	s_cbranch_execz .LBB4_95
; %bb.94:
	v_add_co_u32_e32 v6, vcc, 0x15000, v196
	v_addc_co_u32_e32 v7, vcc, 0, v197, vcc
	global_load_dwordx2 a[82:83], v[6:7], off offset:2048
.LBB4_95:
	s_or_b64 exec, exec, s[0:1]
	v_or_b32_e32 v0, 0x2c00, v248
	v_cmp_gt_u32_e64 s[2:3], s33, v0
                                        ; implicit-def: $agpr84_agpr85
	s_mov_b64 s[0:1], exec
	v_writelane_b32 v250, s2, 32
	v_writelane_b32 v250, s3, 33
	s_and_b64 s[2:3], s[0:1], s[2:3]
	s_mov_b64 exec, s[2:3]
	s_cbranch_execz .LBB4_97
; %bb.96:
	v_add_co_u32_e32 v6, vcc, 0x16000, v196
	v_addc_co_u32_e32 v7, vcc, 0, v197, vcc
	global_load_dwordx2 a[84:85], v[6:7], off
.LBB4_97:
	s_or_b64 exec, exec, s[0:1]
	v_or_b32_e32 v0, 0x2d00, v248
	v_cmp_gt_u32_e64 s[2:3], s33, v0
                                        ; implicit-def: $agpr86_agpr87
	s_mov_b64 s[0:1], exec
	v_writelane_b32 v250, s2, 34
	v_writelane_b32 v250, s3, 35
	s_and_b64 s[2:3], s[0:1], s[2:3]
	s_mov_b64 exec, s[2:3]
	s_cbranch_execz .LBB4_99
; %bb.98:
	v_add_co_u32_e32 v6, vcc, 0x16000, v196
	v_addc_co_u32_e32 v7, vcc, 0, v197, vcc
	global_load_dwordx2 a[86:87], v[6:7], off offset:2048
.LBB4_99:
	s_or_b64 exec, exec, s[0:1]
	v_or_b32_e32 v0, 0x2e00, v248
	v_cmp_gt_u32_e64 s[2:3], s33, v0
                                        ; implicit-def: $agpr88_agpr89
	s_mov_b64 s[0:1], exec
	v_writelane_b32 v250, s2, 36
	v_writelane_b32 v250, s3, 37
	s_and_b64 s[2:3], s[0:1], s[2:3]
	s_mov_b64 exec, s[2:3]
	s_cbranch_execz .LBB4_101
; %bb.100:
	v_add_co_u32_e32 v6, vcc, 0x17000, v196
	v_addc_co_u32_e32 v7, vcc, 0, v197, vcc
	global_load_dwordx2 a[88:89], v[6:7], off
.LBB4_101:
	s_or_b64 exec, exec, s[0:1]
	v_or_b32_e32 v0, 0x2f00, v248
	v_cmp_gt_u32_e64 s[2:3], s33, v0
                                        ; implicit-def: $agpr90_agpr91
	s_mov_b64 s[0:1], exec
	v_writelane_b32 v250, s2, 38
	v_writelane_b32 v250, s3, 39
	s_and_b64 s[2:3], s[0:1], s[2:3]
	s_mov_b64 exec, s[2:3]
	s_cbranch_execz .LBB4_103
; %bb.102:
	v_add_co_u32_e32 v6, vcc, 0x17000, v196
	v_addc_co_u32_e32 v7, vcc, 0, v197, vcc
	global_load_dwordx2 a[90:91], v[6:7], off offset:2048
.LBB4_103:
	s_or_b64 exec, exec, s[0:1]
	v_or_b32_e32 v0, 0x3000, v248
	v_cmp_gt_u32_e64 s[2:3], s33, v0
                                        ; implicit-def: $agpr92_agpr93
	s_mov_b64 s[0:1], exec
	v_writelane_b32 v250, s2, 40
	v_writelane_b32 v250, s3, 41
	s_and_b64 s[2:3], s[0:1], s[2:3]
	s_mov_b64 exec, s[2:3]
	s_cbranch_execz .LBB4_105
; %bb.104:
	v_add_co_u32_e32 v6, vcc, 0x18000, v196
	v_addc_co_u32_e32 v7, vcc, 0, v197, vcc
	global_load_dwordx2 a[92:93], v[6:7], off
.LBB4_105:
	s_or_b64 exec, exec, s[0:1]
	v_or_b32_e32 v0, 0x3100, v248
	v_cmp_gt_u32_e64 s[2:3], s33, v0
                                        ; implicit-def: $agpr94_agpr95
	s_mov_b64 s[0:1], exec
	v_writelane_b32 v250, s2, 42
	v_writelane_b32 v250, s3, 43
	s_and_b64 s[2:3], s[0:1], s[2:3]
	s_mov_b64 exec, s[2:3]
	s_cbranch_execz .LBB4_107
; %bb.106:
	v_add_co_u32_e32 v6, vcc, 0x18000, v196
	v_addc_co_u32_e32 v7, vcc, 0, v197, vcc
	global_load_dwordx2 a[94:95], v[6:7], off offset:2048
.LBB4_107:
	s_or_b64 exec, exec, s[0:1]
	v_or_b32_e32 v0, 0x3200, v248
	v_cmp_gt_u32_e64 s[2:3], s33, v0
                                        ; implicit-def: $agpr96_agpr97
	s_mov_b64 s[0:1], exec
	v_writelane_b32 v250, s2, 44
	v_writelane_b32 v250, s3, 45
	s_and_b64 s[2:3], s[0:1], s[2:3]
	s_mov_b64 exec, s[2:3]
	s_cbranch_execz .LBB4_109
; %bb.108:
	v_add_co_u32_e32 v6, vcc, 0x19000, v196
	v_addc_co_u32_e32 v7, vcc, 0, v197, vcc
	global_load_dwordx2 a[96:97], v[6:7], off
.LBB4_109:
	s_or_b64 exec, exec, s[0:1]
	v_or_b32_e32 v0, 0x3300, v248
	v_cmp_gt_u32_e64 s[2:3], s33, v0
                                        ; implicit-def: $agpr98_agpr99
	s_mov_b64 s[0:1], exec
	v_writelane_b32 v250, s2, 46
	v_writelane_b32 v250, s3, 47
	s_and_b64 s[2:3], s[0:1], s[2:3]
	s_mov_b64 exec, s[2:3]
	s_cbranch_execz .LBB4_111
; %bb.110:
	v_add_co_u32_e32 v6, vcc, 0x19000, v196
	v_addc_co_u32_e32 v7, vcc, 0, v197, vcc
	global_load_dwordx2 a[98:99], v[6:7], off offset:2048
.LBB4_111:
	s_or_b64 exec, exec, s[0:1]
	v_or_b32_e32 v0, 0x3400, v248
	v_cmp_gt_u32_e64 s[2:3], s33, v0
                                        ; implicit-def: $agpr100_agpr101
	s_mov_b64 s[0:1], exec
	v_writelane_b32 v250, s2, 48
	v_writelane_b32 v250, s3, 49
	s_and_b64 s[2:3], s[0:1], s[2:3]
	s_mov_b64 exec, s[2:3]
	s_cbranch_execz .LBB4_113
; %bb.112:
	v_add_co_u32_e32 v6, vcc, 0x1a000, v196
	v_addc_co_u32_e32 v7, vcc, 0, v197, vcc
	global_load_dwordx2 a[100:101], v[6:7], off
.LBB4_113:
	s_or_b64 exec, exec, s[0:1]
	v_or_b32_e32 v0, 0x3500, v248
	v_cmp_gt_u32_e64 s[2:3], s33, v0
                                        ; implicit-def: $agpr102_agpr103
	s_mov_b64 s[0:1], exec
	v_writelane_b32 v250, s2, 50
	v_writelane_b32 v250, s3, 51
	s_and_b64 s[2:3], s[0:1], s[2:3]
	s_mov_b64 exec, s[2:3]
	s_cbranch_execz .LBB4_115
; %bb.114:
	v_add_co_u32_e32 v6, vcc, 0x1a000, v196
	v_addc_co_u32_e32 v7, vcc, 0, v197, vcc
	global_load_dwordx2 a[102:103], v[6:7], off offset:2048
.LBB4_115:
	s_or_b64 exec, exec, s[0:1]
	v_or_b32_e32 v0, 0x3600, v248
	v_cmp_gt_u32_e64 s[2:3], s33, v0
                                        ; implicit-def: $agpr104_agpr105
	s_mov_b64 s[0:1], exec
	v_writelane_b32 v250, s2, 52
	v_writelane_b32 v250, s3, 53
	s_and_b64 s[2:3], s[0:1], s[2:3]
	s_mov_b64 exec, s[2:3]
	s_cbranch_execz .LBB4_117
; %bb.116:
	v_add_co_u32_e32 v6, vcc, 0x1b000, v196
	v_addc_co_u32_e32 v7, vcc, 0, v197, vcc
	global_load_dwordx2 a[104:105], v[6:7], off
.LBB4_117:
	s_or_b64 exec, exec, s[0:1]
	v_or_b32_e32 v0, 0x3700, v248
	v_cmp_gt_u32_e64 s[2:3], s33, v0
                                        ; implicit-def: $agpr106_agpr107
	s_mov_b64 s[0:1], exec
	v_writelane_b32 v250, s2, 54
	v_writelane_b32 v250, s3, 55
	s_and_b64 s[2:3], s[0:1], s[2:3]
	s_mov_b64 exec, s[2:3]
	s_cbranch_execz .LBB4_119
; %bb.118:
	v_add_co_u32_e32 v6, vcc, 0x1b000, v196
	v_addc_co_u32_e32 v7, vcc, 0, v197, vcc
	global_load_dwordx2 a[106:107], v[6:7], off offset:2048
.LBB4_119:
	s_or_b64 exec, exec, s[0:1]
	v_or_b32_e32 v0, 0x3800, v248
	v_cmp_gt_u32_e64 s[2:3], s33, v0
                                        ; implicit-def: $agpr108_agpr109
	s_mov_b64 s[0:1], exec
	v_writelane_b32 v250, s2, 56
	v_writelane_b32 v250, s3, 57
	s_and_b64 s[2:3], s[0:1], s[2:3]
	s_mov_b64 exec, s[2:3]
	s_cbranch_execz .LBB4_121
; %bb.120:
	v_add_co_u32_e32 v6, vcc, 0x1c000, v196
	v_addc_co_u32_e32 v7, vcc, 0, v197, vcc
	global_load_dwordx2 a[108:109], v[6:7], off
.LBB4_121:
	s_or_b64 exec, exec, s[0:1]
	v_or_b32_e32 v0, 0x3900, v248
	v_cmp_gt_u32_e64 s[2:3], s33, v0
                                        ; implicit-def: $agpr110_agpr111
	s_mov_b64 s[0:1], exec
	v_writelane_b32 v250, s2, 58
	v_writelane_b32 v250, s3, 59
	s_and_b64 s[2:3], s[0:1], s[2:3]
	s_mov_b64 exec, s[2:3]
	s_cbranch_execz .LBB4_123
; %bb.122:
	v_add_co_u32_e32 v6, vcc, 0x1c000, v196
	v_addc_co_u32_e32 v7, vcc, 0, v197, vcc
	global_load_dwordx2 a[110:111], v[6:7], off offset:2048
.LBB4_123:
	s_or_b64 exec, exec, s[0:1]
	v_or_b32_e32 v0, 0x3a00, v248
	v_cmp_gt_u32_e64 s[2:3], s33, v0
                                        ; implicit-def: $agpr112_agpr113
	s_mov_b64 s[0:1], exec
	v_writelane_b32 v250, s2, 60
	v_writelane_b32 v250, s3, 61
	s_and_b64 s[2:3], s[0:1], s[2:3]
	s_mov_b64 exec, s[2:3]
	s_cbranch_execz .LBB4_125
; %bb.124:
	v_add_co_u32_e32 v6, vcc, 0x1d000, v196
	v_addc_co_u32_e32 v7, vcc, 0, v197, vcc
	global_load_dwordx2 a[112:113], v[6:7], off
.LBB4_125:
	s_or_b64 exec, exec, s[0:1]
	v_or_b32_e32 v0, 0x3b00, v248
	v_cmp_gt_u32_e64 s[2:3], s33, v0
                                        ; implicit-def: $agpr114_agpr115
	s_mov_b64 s[0:1], exec
	v_writelane_b32 v250, s2, 62
	v_writelane_b32 v250, s3, 63
	s_and_b64 s[2:3], s[0:1], s[2:3]
	s_mov_b64 exec, s[2:3]
	s_cbranch_execz .LBB4_127
; %bb.126:
	v_add_co_u32_e32 v6, vcc, 0x1d000, v196
	v_addc_co_u32_e32 v7, vcc, 0, v197, vcc
	global_load_dwordx2 a[114:115], v[6:7], off offset:2048
.LBB4_127:
	s_or_b64 exec, exec, s[0:1]
	v_or_b32_e32 v0, 0x3c00, v248
	v_cmp_gt_u32_e64 s[2:3], s33, v0
                                        ; implicit-def: $agpr116_agpr117
	s_mov_b64 s[0:1], exec
                                        ; implicit-def: $vgpr251 : SGPR spill to VGPR lane
	v_writelane_b32 v251, s2, 0
	v_writelane_b32 v251, s3, 1
	s_and_b64 s[2:3], s[0:1], s[2:3]
	s_mov_b64 exec, s[2:3]
	s_cbranch_execz .LBB4_129
; %bb.128:
	v_add_co_u32_e32 v6, vcc, 0x1e000, v196
	v_addc_co_u32_e32 v7, vcc, 0, v197, vcc
	global_load_dwordx2 a[116:117], v[6:7], off
.LBB4_129:
	s_or_b64 exec, exec, s[0:1]
	v_or_b32_e32 v0, 0x3d00, v248
	v_cmp_gt_u32_e64 s[2:3], s33, v0
                                        ; implicit-def: $agpr118_agpr119
	s_mov_b64 s[0:1], exec
	v_writelane_b32 v251, s2, 2
	v_writelane_b32 v251, s3, 3
	s_and_b64 s[2:3], s[0:1], s[2:3]
	s_mov_b64 exec, s[2:3]
	s_cbranch_execz .LBB4_131
; %bb.130:
	v_add_co_u32_e32 v6, vcc, 0x1e000, v196
	v_addc_co_u32_e32 v7, vcc, 0, v197, vcc
	global_load_dwordx2 a[118:119], v[6:7], off offset:2048
.LBB4_131:
	s_or_b64 exec, exec, s[0:1]
	v_or_b32_e32 v0, 0x3e00, v248
	v_cmp_gt_u32_e64 s[2:3], s33, v0
                                        ; implicit-def: $agpr120_agpr121
	s_mov_b64 s[0:1], exec
	v_writelane_b32 v251, s2, 4
	v_writelane_b32 v251, s3, 5
	s_and_b64 s[2:3], s[0:1], s[2:3]
	s_mov_b64 exec, s[2:3]
	s_cbranch_execz .LBB4_133
; %bb.132:
	v_add_co_u32_e32 v6, vcc, 0x1f000, v196
	v_addc_co_u32_e32 v7, vcc, 0, v197, vcc
	global_load_dwordx2 a[120:121], v[6:7], off
.LBB4_133:
	s_or_b64 exec, exec, s[0:1]
	v_or_b32_e32 v0, 0x3f00, v248
	v_cmp_gt_u32_e64 s[2:3], s33, v0
                                        ; implicit-def: $agpr122_agpr123
	s_mov_b64 s[0:1], exec
	v_writelane_b32 v251, s2, 6
	v_writelane_b32 v251, s3, 7
	s_and_b64 s[2:3], s[0:1], s[2:3]
	s_mov_b64 exec, s[2:3]
	s_cbranch_execz .LBB4_135
; %bb.134:
	v_add_co_u32_e32 v6, vcc, 0x1f000, v196
	v_addc_co_u32_e32 v7, vcc, 0, v197, vcc
	global_load_dwordx2 a[122:123], v[6:7], off offset:2048
.LBB4_135:
	s_or_b64 exec, exec, s[0:1]
	v_or_b32_e32 v0, 0x4000, v248
	v_cmp_gt_u32_e64 s[2:3], s33, v0
                                        ; implicit-def: $agpr124_agpr125
	s_mov_b64 s[0:1], exec
	v_writelane_b32 v251, s2, 8
	v_writelane_b32 v251, s3, 9
	s_and_b64 s[2:3], s[0:1], s[2:3]
	s_mov_b64 exec, s[2:3]
	s_cbranch_execz .LBB4_137
; %bb.136:
	v_add_co_u32_e32 v6, vcc, 0x20000, v196
	v_addc_co_u32_e32 v7, vcc, 0, v197, vcc
	global_load_dwordx2 a[124:125], v[6:7], off
.LBB4_137:
	s_or_b64 exec, exec, s[0:1]
	v_or_b32_e32 v0, 0x4100, v248
	v_cmp_gt_u32_e64 s[2:3], s33, v0
                                        ; implicit-def: $agpr126_agpr127
	s_mov_b64 s[0:1], exec
	v_writelane_b32 v251, s2, 10
	v_writelane_b32 v251, s3, 11
	s_and_b64 s[2:3], s[0:1], s[2:3]
	s_mov_b64 exec, s[2:3]
	s_cbranch_execz .LBB4_139
; %bb.138:
	v_add_co_u32_e32 v6, vcc, 0x20000, v196
	v_addc_co_u32_e32 v7, vcc, 0, v197, vcc
	global_load_dwordx2 a[126:127], v[6:7], off offset:2048
.LBB4_139:
	s_or_b64 exec, exec, s[0:1]
	v_or_b32_e32 v0, 0x4200, v248
	v_cmp_gt_u32_e64 s[2:3], s33, v0
                                        ; implicit-def: $agpr128_agpr129
	s_mov_b64 s[0:1], exec
	v_writelane_b32 v251, s2, 12
	v_writelane_b32 v251, s3, 13
	s_and_b64 s[2:3], s[0:1], s[2:3]
	s_mov_b64 exec, s[2:3]
	s_cbranch_execz .LBB4_141
; %bb.140:
	v_add_co_u32_e32 v6, vcc, 0x21000, v196
	v_addc_co_u32_e32 v7, vcc, 0, v197, vcc
	global_load_dwordx2 a[128:129], v[6:7], off
.LBB4_141:
	s_or_b64 exec, exec, s[0:1]
	v_or_b32_e32 v0, 0x4300, v248
	v_cmp_gt_u32_e64 s[2:3], s33, v0
                                        ; implicit-def: $agpr130_agpr131
	s_mov_b64 s[0:1], exec
	v_writelane_b32 v251, s2, 14
	v_writelane_b32 v251, s3, 15
	s_and_b64 s[2:3], s[0:1], s[2:3]
	s_mov_b64 exec, s[2:3]
	s_cbranch_execz .LBB4_143
; %bb.142:
	v_add_co_u32_e32 v6, vcc, 0x21000, v196
	v_addc_co_u32_e32 v7, vcc, 0, v197, vcc
	global_load_dwordx2 a[130:131], v[6:7], off offset:2048
.LBB4_143:
	s_or_b64 exec, exec, s[0:1]
	v_or_b32_e32 v0, 0x4400, v248
	v_cmp_gt_u32_e64 s[2:3], s33, v0
                                        ; implicit-def: $agpr132_agpr133
	s_mov_b64 s[0:1], exec
	v_writelane_b32 v251, s2, 16
	v_writelane_b32 v251, s3, 17
	s_and_b64 s[2:3], s[0:1], s[2:3]
	s_mov_b64 exec, s[2:3]
	s_cbranch_execz .LBB4_145
; %bb.144:
	v_add_co_u32_e32 v6, vcc, 0x22000, v196
	v_addc_co_u32_e32 v7, vcc, 0, v197, vcc
	global_load_dwordx2 a[132:133], v[6:7], off
.LBB4_145:
	s_or_b64 exec, exec, s[0:1]
	v_or_b32_e32 v0, 0x4500, v248
	v_cmp_gt_u32_e64 s[2:3], s33, v0
                                        ; implicit-def: $agpr134_agpr135
	s_mov_b64 s[0:1], exec
	v_writelane_b32 v251, s2, 18
	v_writelane_b32 v251, s3, 19
	s_and_b64 s[2:3], s[0:1], s[2:3]
	s_mov_b64 exec, s[2:3]
	s_cbranch_execz .LBB4_147
; %bb.146:
	v_add_co_u32_e32 v6, vcc, 0x22000, v196
	v_addc_co_u32_e32 v7, vcc, 0, v197, vcc
	global_load_dwordx2 a[134:135], v[6:7], off offset:2048
.LBB4_147:
	s_or_b64 exec, exec, s[0:1]
	v_or_b32_e32 v0, 0x4600, v248
	v_cmp_gt_u32_e64 s[2:3], s33, v0
                                        ; implicit-def: $agpr136_agpr137
	s_mov_b64 s[0:1], exec
	v_writelane_b32 v251, s2, 20
	v_writelane_b32 v251, s3, 21
	s_and_b64 s[2:3], s[0:1], s[2:3]
	s_mov_b64 exec, s[2:3]
	s_cbranch_execz .LBB4_149
; %bb.148:
	v_add_co_u32_e32 v6, vcc, 0x23000, v196
	v_addc_co_u32_e32 v7, vcc, 0, v197, vcc
	global_load_dwordx2 a[136:137], v[6:7], off
.LBB4_149:
	s_or_b64 exec, exec, s[0:1]
	v_or_b32_e32 v0, 0x4700, v248
	v_cmp_gt_u32_e64 s[2:3], s33, v0
                                        ; implicit-def: $agpr138_agpr139
	s_mov_b64 s[0:1], exec
	v_writelane_b32 v251, s2, 22
	v_writelane_b32 v251, s3, 23
	s_and_b64 s[2:3], s[0:1], s[2:3]
	s_mov_b64 exec, s[2:3]
	s_cbranch_execz .LBB4_151
; %bb.150:
	v_add_co_u32_e32 v6, vcc, 0x23000, v196
	v_addc_co_u32_e32 v7, vcc, 0, v197, vcc
	global_load_dwordx2 a[138:139], v[6:7], off offset:2048
.LBB4_151:
	s_or_b64 exec, exec, s[0:1]
	v_or_b32_e32 v0, 0x4800, v248
	v_cmp_gt_u32_e64 s[2:3], s33, v0
                                        ; implicit-def: $agpr140_agpr141
	s_mov_b64 s[0:1], exec
	v_writelane_b32 v251, s2, 24
	v_writelane_b32 v251, s3, 25
	s_and_b64 s[2:3], s[0:1], s[2:3]
	s_mov_b64 exec, s[2:3]
	s_cbranch_execz .LBB4_153
; %bb.152:
	v_add_co_u32_e32 v6, vcc, 0x24000, v196
	v_addc_co_u32_e32 v7, vcc, 0, v197, vcc
	global_load_dwordx2 a[140:141], v[6:7], off
.LBB4_153:
	s_or_b64 exec, exec, s[0:1]
	v_or_b32_e32 v0, 0x4900, v248
	v_cmp_gt_u32_e64 s[2:3], s33, v0
                                        ; implicit-def: $agpr142_agpr143
	s_mov_b64 s[0:1], exec
	v_writelane_b32 v251, s2, 26
	v_writelane_b32 v251, s3, 27
	s_and_b64 s[2:3], s[0:1], s[2:3]
	s_mov_b64 exec, s[2:3]
	s_cbranch_execz .LBB4_155
; %bb.154:
	v_add_co_u32_e32 v6, vcc, 0x24000, v196
	v_addc_co_u32_e32 v7, vcc, 0, v197, vcc
	global_load_dwordx2 a[142:143], v[6:7], off offset:2048
.LBB4_155:
	s_or_b64 exec, exec, s[0:1]
	v_or_b32_e32 v0, 0x4a00, v248
	v_cmp_gt_u32_e64 s[2:3], s33, v0
                                        ; implicit-def: $agpr144_agpr145
	s_mov_b64 s[0:1], exec
	v_writelane_b32 v251, s2, 28
	v_writelane_b32 v251, s3, 29
	s_and_b64 s[2:3], s[0:1], s[2:3]
	s_mov_b64 exec, s[2:3]
	s_cbranch_execz .LBB4_157
; %bb.156:
	v_add_co_u32_e32 v6, vcc, 0x25000, v196
	v_addc_co_u32_e32 v7, vcc, 0, v197, vcc
	global_load_dwordx2 a[144:145], v[6:7], off
.LBB4_157:
	s_or_b64 exec, exec, s[0:1]
	v_or_b32_e32 v0, 0x4b00, v248
	v_cmp_gt_u32_e64 s[2:3], s33, v0
                                        ; implicit-def: $agpr146_agpr147
	s_mov_b64 s[0:1], exec
	v_writelane_b32 v251, s2, 30
	v_writelane_b32 v251, s3, 31
	s_and_b64 s[2:3], s[0:1], s[2:3]
	s_mov_b64 exec, s[2:3]
	s_cbranch_execz .LBB4_159
; %bb.158:
	v_add_co_u32_e32 v6, vcc, 0x25000, v196
	v_addc_co_u32_e32 v7, vcc, 0, v197, vcc
	global_load_dwordx2 a[146:147], v[6:7], off offset:2048
.LBB4_159:
	s_or_b64 exec, exec, s[0:1]
	v_or_b32_e32 v0, 0x4c00, v248
	v_cmp_gt_u32_e64 s[2:3], s33, v0
                                        ; implicit-def: $agpr148_agpr149
	s_mov_b64 s[0:1], exec
	v_writelane_b32 v251, s2, 32
	v_writelane_b32 v251, s3, 33
	s_and_b64 s[2:3], s[0:1], s[2:3]
	s_mov_b64 exec, s[2:3]
	s_cbranch_execz .LBB4_161
; %bb.160:
	v_add_co_u32_e32 v6, vcc, 0x26000, v196
	v_addc_co_u32_e32 v7, vcc, 0, v197, vcc
	global_load_dwordx2 a[148:149], v[6:7], off
.LBB4_161:
	s_or_b64 exec, exec, s[0:1]
	v_or_b32_e32 v0, 0x4d00, v248
	v_cmp_gt_u32_e64 s[2:3], s33, v0
                                        ; implicit-def: $agpr150_agpr151
	s_mov_b64 s[0:1], exec
	v_writelane_b32 v251, s2, 34
	v_writelane_b32 v251, s3, 35
	s_and_b64 s[2:3], s[0:1], s[2:3]
	s_mov_b64 exec, s[2:3]
	s_cbranch_execz .LBB4_163
; %bb.162:
	v_add_co_u32_e32 v6, vcc, 0x26000, v196
	v_addc_co_u32_e32 v7, vcc, 0, v197, vcc
	global_load_dwordx2 a[150:151], v[6:7], off offset:2048
.LBB4_163:
	s_or_b64 exec, exec, s[0:1]
	v_or_b32_e32 v0, 0x4e00, v248
	v_cmp_gt_u32_e64 s[2:3], s33, v0
                                        ; implicit-def: $agpr152_agpr153
	s_mov_b64 s[0:1], exec
	v_writelane_b32 v251, s2, 36
	v_writelane_b32 v251, s3, 37
	s_and_b64 s[2:3], s[0:1], s[2:3]
	s_mov_b64 exec, s[2:3]
	s_cbranch_execz .LBB4_165
; %bb.164:
	v_add_co_u32_e32 v6, vcc, 0x27000, v196
	v_addc_co_u32_e32 v7, vcc, 0, v197, vcc
	global_load_dwordx2 a[152:153], v[6:7], off
.LBB4_165:
	s_or_b64 exec, exec, s[0:1]
	v_or_b32_e32 v0, 0x4f00, v248
	v_cmp_gt_u32_e64 s[2:3], s33, v0
                                        ; implicit-def: $agpr154_agpr155
	s_mov_b64 s[0:1], exec
	v_writelane_b32 v251, s2, 38
	v_writelane_b32 v251, s3, 39
	s_and_b64 s[2:3], s[0:1], s[2:3]
	s_mov_b64 exec, s[2:3]
	s_cbranch_execz .LBB4_167
; %bb.166:
	v_add_co_u32_e32 v6, vcc, 0x27000, v196
	v_addc_co_u32_e32 v7, vcc, 0, v197, vcc
	global_load_dwordx2 a[154:155], v[6:7], off offset:2048
.LBB4_167:
	s_or_b64 exec, exec, s[0:1]
	v_or_b32_e32 v0, 0x5000, v248
	v_cmp_gt_u32_e64 s[2:3], s33, v0
                                        ; implicit-def: $agpr156_agpr157
	s_mov_b64 s[0:1], exec
	v_writelane_b32 v251, s2, 40
	v_writelane_b32 v251, s3, 41
	s_and_b64 s[2:3], s[0:1], s[2:3]
	s_mov_b64 exec, s[2:3]
	s_cbranch_execz .LBB4_169
; %bb.168:
	v_add_co_u32_e32 v6, vcc, 0x28000, v196
	v_addc_co_u32_e32 v7, vcc, 0, v197, vcc
	global_load_dwordx2 a[156:157], v[6:7], off
.LBB4_169:
	s_or_b64 exec, exec, s[0:1]
	v_or_b32_e32 v0, 0x5100, v248
	v_cmp_gt_u32_e64 s[2:3], s33, v0
                                        ; implicit-def: $agpr158_agpr159
	s_mov_b64 s[0:1], exec
	v_writelane_b32 v251, s2, 42
	v_writelane_b32 v251, s3, 43
	s_and_b64 s[2:3], s[0:1], s[2:3]
	s_mov_b64 exec, s[2:3]
	s_cbranch_execz .LBB4_171
; %bb.170:
	v_add_co_u32_e32 v6, vcc, 0x28000, v196
	v_addc_co_u32_e32 v7, vcc, 0, v197, vcc
	global_load_dwordx2 a[158:159], v[6:7], off offset:2048
.LBB4_171:
	s_or_b64 exec, exec, s[0:1]
	v_or_b32_e32 v0, 0x5200, v248
	v_cmp_gt_u32_e64 s[2:3], s33, v0
                                        ; implicit-def: $agpr160_agpr161
	s_mov_b64 s[0:1], exec
	v_writelane_b32 v251, s2, 44
	v_writelane_b32 v251, s3, 45
	s_and_b64 s[2:3], s[0:1], s[2:3]
	s_mov_b64 exec, s[2:3]
	s_cbranch_execz .LBB4_173
; %bb.172:
	v_add_co_u32_e32 v6, vcc, 0x29000, v196
	v_addc_co_u32_e32 v7, vcc, 0, v197, vcc
	global_load_dwordx2 a[160:161], v[6:7], off
.LBB4_173:
	s_or_b64 exec, exec, s[0:1]
	v_or_b32_e32 v0, 0x5300, v248
	v_cmp_gt_u32_e64 s[2:3], s33, v0
                                        ; implicit-def: $agpr162_agpr163
	s_mov_b64 s[0:1], exec
	v_writelane_b32 v251, s2, 46
	v_writelane_b32 v251, s3, 47
	s_and_b64 s[2:3], s[0:1], s[2:3]
	s_mov_b64 exec, s[2:3]
	s_cbranch_execz .LBB4_175
; %bb.174:
	v_add_co_u32_e32 v6, vcc, 0x29000, v196
	v_addc_co_u32_e32 v7, vcc, 0, v197, vcc
	global_load_dwordx2 a[162:163], v[6:7], off offset:2048
.LBB4_175:
	s_or_b64 exec, exec, s[0:1]
	v_or_b32_e32 v0, 0x5400, v248
	v_cmp_gt_u32_e64 s[2:3], s33, v0
                                        ; implicit-def: $agpr164_agpr165
	s_mov_b64 s[0:1], exec
	v_writelane_b32 v251, s2, 48
	v_writelane_b32 v251, s3, 49
	s_and_b64 s[2:3], s[0:1], s[2:3]
	s_mov_b64 exec, s[2:3]
	s_cbranch_execz .LBB4_177
; %bb.176:
	v_add_co_u32_e32 v6, vcc, 0x2a000, v196
	v_addc_co_u32_e32 v7, vcc, 0, v197, vcc
	global_load_dwordx2 a[164:165], v[6:7], off
.LBB4_177:
	s_or_b64 exec, exec, s[0:1]
	v_or_b32_e32 v0, 0x5500, v248
	v_cmp_gt_u32_e64 s[2:3], s33, v0
                                        ; implicit-def: $agpr166_agpr167
	s_mov_b64 s[0:1], exec
	v_writelane_b32 v251, s2, 50
	v_writelane_b32 v251, s3, 51
	s_and_b64 s[2:3], s[0:1], s[2:3]
	s_mov_b64 exec, s[2:3]
	s_cbranch_execz .LBB4_179
; %bb.178:
	v_add_co_u32_e32 v6, vcc, 0x2a000, v196
	v_addc_co_u32_e32 v7, vcc, 0, v197, vcc
	global_load_dwordx2 a[166:167], v[6:7], off offset:2048
.LBB4_179:
	s_or_b64 exec, exec, s[0:1]
	v_or_b32_e32 v0, 0x5600, v248
	v_cmp_gt_u32_e64 s[2:3], s33, v0
                                        ; implicit-def: $agpr168_agpr169
	s_mov_b64 s[0:1], exec
	v_writelane_b32 v251, s2, 52
	v_writelane_b32 v251, s3, 53
	s_and_b64 s[2:3], s[0:1], s[2:3]
	s_mov_b64 exec, s[2:3]
	s_cbranch_execz .LBB4_181
; %bb.180:
	v_add_co_u32_e32 v6, vcc, 0x2b000, v196
	v_addc_co_u32_e32 v7, vcc, 0, v197, vcc
	global_load_dwordx2 a[168:169], v[6:7], off
.LBB4_181:
	s_or_b64 exec, exec, s[0:1]
	v_or_b32_e32 v0, 0x5700, v248
	v_cmp_gt_u32_e64 s[2:3], s33, v0
                                        ; implicit-def: $agpr170_agpr171
	s_mov_b64 s[0:1], exec
	v_writelane_b32 v251, s2, 54
	v_writelane_b32 v251, s3, 55
	s_and_b64 s[2:3], s[0:1], s[2:3]
	s_mov_b64 exec, s[2:3]
	s_cbranch_execz .LBB4_183
; %bb.182:
	v_add_co_u32_e32 v6, vcc, 0x2b000, v196
	v_addc_co_u32_e32 v7, vcc, 0, v197, vcc
	global_load_dwordx2 a[170:171], v[6:7], off offset:2048
.LBB4_183:
	s_or_b64 exec, exec, s[0:1]
	v_or_b32_e32 v0, 0x5800, v248
	v_cmp_gt_u32_e64 s[2:3], s33, v0
                                        ; implicit-def: $agpr172_agpr173
	s_mov_b64 s[0:1], exec
	v_writelane_b32 v251, s2, 56
	v_writelane_b32 v251, s3, 57
	s_and_b64 s[2:3], s[0:1], s[2:3]
	s_mov_b64 exec, s[2:3]
	s_cbranch_execz .LBB4_185
; %bb.184:
	v_add_co_u32_e32 v6, vcc, 0x2c000, v196
	v_addc_co_u32_e32 v7, vcc, 0, v197, vcc
	global_load_dwordx2 a[172:173], v[6:7], off
.LBB4_185:
	s_or_b64 exec, exec, s[0:1]
	v_or_b32_e32 v0, 0x5900, v248
	v_cmp_gt_u32_e64 s[2:3], s33, v0
                                        ; implicit-def: $agpr174_agpr175
	s_mov_b64 s[0:1], exec
	v_writelane_b32 v251, s2, 58
	v_writelane_b32 v251, s3, 59
	s_and_b64 s[2:3], s[0:1], s[2:3]
	s_mov_b64 exec, s[2:3]
	s_cbranch_execz .LBB4_187
; %bb.186:
	v_add_co_u32_e32 v6, vcc, 0x2c000, v196
	v_addc_co_u32_e32 v7, vcc, 0, v197, vcc
	global_load_dwordx2 a[174:175], v[6:7], off offset:2048
.LBB4_187:
	s_or_b64 exec, exec, s[0:1]
	v_or_b32_e32 v0, 0x5a00, v248
	v_cmp_gt_u32_e64 s[2:3], s33, v0
                                        ; implicit-def: $agpr176_agpr177
	s_mov_b64 s[0:1], exec
	v_writelane_b32 v251, s2, 60
	v_writelane_b32 v251, s3, 61
	s_and_b64 s[2:3], s[0:1], s[2:3]
	s_mov_b64 exec, s[2:3]
	s_cbranch_execz .LBB4_189
; %bb.188:
	v_add_co_u32_e32 v6, vcc, 0x2d000, v196
	v_addc_co_u32_e32 v7, vcc, 0, v197, vcc
	global_load_dwordx2 a[176:177], v[6:7], off
.LBB4_189:
	s_or_b64 exec, exec, s[0:1]
	v_or_b32_e32 v0, 0x5b00, v248
	v_cmp_gt_u32_e64 s[2:3], s33, v0
                                        ; implicit-def: $agpr178_agpr179
	s_mov_b64 s[0:1], exec
	v_writelane_b32 v251, s2, 62
	v_writelane_b32 v251, s3, 63
	s_and_b64 s[2:3], s[0:1], s[2:3]
	s_mov_b64 exec, s[2:3]
	s_cbranch_execz .LBB4_191
; %bb.190:
	v_add_co_u32_e32 v6, vcc, 0x2d000, v196
	v_addc_co_u32_e32 v7, vcc, 0, v197, vcc
	global_load_dwordx2 a[178:179], v[6:7], off offset:2048
.LBB4_191:
	s_or_b64 exec, exec, s[0:1]
	v_or_b32_e32 v0, 0x5c00, v248
	v_cmp_gt_u32_e64 s[2:3], s33, v0
                                        ; implicit-def: $agpr180_agpr181
	s_mov_b64 s[0:1], exec
                                        ; implicit-def: $vgpr252 : SGPR spill to VGPR lane
	v_writelane_b32 v252, s2, 0
	v_writelane_b32 v252, s3, 1
	s_and_b64 s[2:3], s[0:1], s[2:3]
	s_mov_b64 exec, s[2:3]
	s_cbranch_execz .LBB4_193
; %bb.192:
	v_add_co_u32_e32 v6, vcc, 0x2e000, v196
	v_addc_co_u32_e32 v7, vcc, 0, v197, vcc
	global_load_dwordx2 a[180:181], v[6:7], off
.LBB4_193:
	s_or_b64 exec, exec, s[0:1]
	v_or_b32_e32 v0, 0x5d00, v248
	v_cmp_gt_u32_e64 s[2:3], s33, v0
                                        ; implicit-def: $agpr182_agpr183
	s_mov_b64 s[0:1], exec
	v_writelane_b32 v252, s2, 2
	v_writelane_b32 v252, s3, 3
	s_and_b64 s[2:3], s[0:1], s[2:3]
	s_mov_b64 exec, s[2:3]
	s_cbranch_execz .LBB4_195
; %bb.194:
	v_add_co_u32_e32 v6, vcc, 0x2e000, v196
	v_addc_co_u32_e32 v7, vcc, 0, v197, vcc
	global_load_dwordx2 a[182:183], v[6:7], off offset:2048
.LBB4_195:
	s_or_b64 exec, exec, s[0:1]
	v_or_b32_e32 v0, 0x5e00, v248
	v_cmp_gt_u32_e64 s[2:3], s33, v0
                                        ; implicit-def: $agpr184_agpr185
	s_mov_b64 s[0:1], exec
	v_writelane_b32 v252, s2, 4
	v_writelane_b32 v252, s3, 5
	s_and_b64 s[2:3], s[0:1], s[2:3]
	s_mov_b64 exec, s[2:3]
	s_cbranch_execz .LBB4_197
; %bb.196:
	v_add_co_u32_e32 v6, vcc, 0x2f000, v196
	v_addc_co_u32_e32 v7, vcc, 0, v197, vcc
	global_load_dwordx2 a[184:185], v[6:7], off
.LBB4_197:
	s_or_b64 exec, exec, s[0:1]
	v_or_b32_e32 v0, 0x5f00, v248
	v_cmp_gt_u32_e64 s[2:3], s33, v0
                                        ; implicit-def: $agpr186_agpr187
	s_mov_b64 s[0:1], exec
	v_writelane_b32 v252, s2, 6
	v_writelane_b32 v252, s3, 7
	s_and_b64 s[2:3], s[0:1], s[2:3]
	s_mov_b64 exec, s[2:3]
	s_cbranch_execz .LBB4_199
; %bb.198:
	v_add_co_u32_e32 v6, vcc, 0x2f000, v196
	v_addc_co_u32_e32 v7, vcc, 0, v197, vcc
	global_load_dwordx2 a[186:187], v[6:7], off offset:2048
.LBB4_199:
	s_or_b64 exec, exec, s[0:1]
	v_or_b32_e32 v0, 0x6000, v248
	v_cmp_gt_u32_e64 s[2:3], s33, v0
                                        ; implicit-def: $agpr188_agpr189
	s_mov_b64 s[0:1], exec
	v_writelane_b32 v252, s2, 8
	v_writelane_b32 v252, s3, 9
	s_and_b64 s[2:3], s[0:1], s[2:3]
	s_mov_b64 exec, s[2:3]
	s_cbranch_execz .LBB4_201
; %bb.200:
	v_add_co_u32_e32 v6, vcc, 0x30000, v196
	v_addc_co_u32_e32 v7, vcc, 0, v197, vcc
	global_load_dwordx2 a[188:189], v[6:7], off
.LBB4_201:
	s_or_b64 exec, exec, s[0:1]
	v_or_b32_e32 v0, 0x6100, v248
	v_cmp_gt_u32_e64 s[2:3], s33, v0
                                        ; implicit-def: $agpr190_agpr191
	s_mov_b64 s[0:1], exec
	v_writelane_b32 v252, s2, 10
	v_writelane_b32 v252, s3, 11
	s_and_b64 s[2:3], s[0:1], s[2:3]
	s_mov_b64 exec, s[2:3]
	s_cbranch_execz .LBB4_203
; %bb.202:
	v_add_co_u32_e32 v6, vcc, 0x30000, v196
	v_addc_co_u32_e32 v7, vcc, 0, v197, vcc
	global_load_dwordx2 a[190:191], v[6:7], off offset:2048
.LBB4_203:
	s_or_b64 exec, exec, s[0:1]
	v_or_b32_e32 v0, 0x6200, v248
	v_cmp_gt_u32_e64 s[2:3], s33, v0
                                        ; implicit-def: $agpr192_agpr193
	s_mov_b64 s[0:1], exec
	v_writelane_b32 v252, s2, 12
	v_writelane_b32 v252, s3, 13
	s_and_b64 s[2:3], s[0:1], s[2:3]
	s_mov_b64 exec, s[2:3]
	s_cbranch_execz .LBB4_205
; %bb.204:
	v_add_co_u32_e32 v6, vcc, 0x31000, v196
	v_addc_co_u32_e32 v7, vcc, 0, v197, vcc
	global_load_dwordx2 a[192:193], v[6:7], off
.LBB4_205:
	s_or_b64 exec, exec, s[0:1]
	v_or_b32_e32 v0, 0x6300, v248
	v_cmp_gt_u32_e64 s[2:3], s33, v0
                                        ; implicit-def: $agpr194_agpr195
	s_mov_b64 s[0:1], exec
	v_writelane_b32 v252, s2, 14
	v_writelane_b32 v252, s3, 15
	s_and_b64 s[2:3], s[0:1], s[2:3]
	s_mov_b64 exec, s[2:3]
	s_cbranch_execz .LBB4_207
; %bb.206:
	v_add_co_u32_e32 v6, vcc, 0x31000, v196
	v_addc_co_u32_e32 v7, vcc, 0, v197, vcc
	global_load_dwordx2 a[194:195], v[6:7], off offset:2048
.LBB4_207:
	s_or_b64 exec, exec, s[0:1]
	v_or_b32_e32 v0, 0x6400, v248
	v_cmp_gt_u32_e64 s[2:3], s33, v0
                                        ; implicit-def: $agpr196_agpr197
	s_mov_b64 s[0:1], exec
	v_writelane_b32 v252, s2, 16
	v_writelane_b32 v252, s3, 17
	s_and_b64 s[2:3], s[0:1], s[2:3]
	s_mov_b64 exec, s[2:3]
	s_cbranch_execz .LBB4_209
; %bb.208:
	v_add_co_u32_e32 v6, vcc, 0x32000, v196
	v_addc_co_u32_e32 v7, vcc, 0, v197, vcc
	global_load_dwordx2 a[196:197], v[6:7], off
.LBB4_209:
	s_or_b64 exec, exec, s[0:1]
	v_or_b32_e32 v0, 0x6500, v248
	v_cmp_gt_u32_e64 s[2:3], s33, v0
                                        ; implicit-def: $agpr198_agpr199
	s_mov_b64 s[0:1], exec
	v_writelane_b32 v252, s2, 18
	v_writelane_b32 v252, s3, 19
	s_and_b64 s[2:3], s[0:1], s[2:3]
	s_mov_b64 exec, s[2:3]
	s_cbranch_execz .LBB4_211
; %bb.210:
	v_add_co_u32_e32 v6, vcc, 0x32000, v196
	v_addc_co_u32_e32 v7, vcc, 0, v197, vcc
	global_load_dwordx2 a[198:199], v[6:7], off offset:2048
.LBB4_211:
	s_or_b64 exec, exec, s[0:1]
	v_or_b32_e32 v0, 0x6600, v248
	v_cmp_gt_u32_e64 s[2:3], s33, v0
                                        ; implicit-def: $agpr200_agpr201
	s_mov_b64 s[0:1], exec
	v_writelane_b32 v252, s2, 20
	v_writelane_b32 v252, s3, 21
	s_and_b64 s[2:3], s[0:1], s[2:3]
	s_mov_b64 exec, s[2:3]
	s_cbranch_execz .LBB4_213
; %bb.212:
	v_add_co_u32_e32 v6, vcc, 0x33000, v196
	v_addc_co_u32_e32 v7, vcc, 0, v197, vcc
	global_load_dwordx2 a[200:201], v[6:7], off
.LBB4_213:
	s_or_b64 exec, exec, s[0:1]
	v_or_b32_e32 v0, 0x6700, v248
	v_cmp_gt_u32_e64 s[2:3], s33, v0
                                        ; implicit-def: $agpr202_agpr203
	s_mov_b64 s[0:1], exec
	v_writelane_b32 v252, s2, 22
	v_writelane_b32 v252, s3, 23
	s_and_b64 s[2:3], s[0:1], s[2:3]
	s_mov_b64 exec, s[2:3]
	s_cbranch_execz .LBB4_215
; %bb.214:
	v_add_co_u32_e32 v6, vcc, 0x33000, v196
	v_addc_co_u32_e32 v7, vcc, 0, v197, vcc
	global_load_dwordx2 a[202:203], v[6:7], off offset:2048
.LBB4_215:
	s_or_b64 exec, exec, s[0:1]
	v_or_b32_e32 v0, 0x6800, v248
	v_cmp_gt_u32_e64 s[2:3], s33, v0
                                        ; implicit-def: $agpr204_agpr205
	s_mov_b64 s[0:1], exec
	v_writelane_b32 v252, s2, 24
	v_writelane_b32 v252, s3, 25
	s_and_b64 s[2:3], s[0:1], s[2:3]
	s_mov_b64 exec, s[2:3]
	s_cbranch_execz .LBB4_217
; %bb.216:
	v_add_co_u32_e32 v6, vcc, 0x34000, v196
	v_addc_co_u32_e32 v7, vcc, 0, v197, vcc
	global_load_dwordx2 a[204:205], v[6:7], off
.LBB4_217:
	s_or_b64 exec, exec, s[0:1]
	v_or_b32_e32 v0, 0x6900, v248
	v_cmp_gt_u32_e64 s[2:3], s33, v0
                                        ; implicit-def: $agpr206_agpr207
	s_mov_b64 s[0:1], exec
	v_writelane_b32 v252, s2, 26
	v_writelane_b32 v252, s3, 27
	s_and_b64 s[2:3], s[0:1], s[2:3]
	s_mov_b64 exec, s[2:3]
	s_cbranch_execz .LBB4_219
; %bb.218:
	v_add_co_u32_e32 v6, vcc, 0x34000, v196
	v_addc_co_u32_e32 v7, vcc, 0, v197, vcc
	global_load_dwordx2 a[206:207], v[6:7], off offset:2048
.LBB4_219:
	s_or_b64 exec, exec, s[0:1]
	v_or_b32_e32 v0, 0x6a00, v248
	v_cmp_gt_u32_e64 s[2:3], s33, v0
                                        ; implicit-def: $agpr208_agpr209
	s_mov_b64 s[0:1], exec
	v_writelane_b32 v252, s2, 28
	v_writelane_b32 v252, s3, 29
	s_and_b64 s[2:3], s[0:1], s[2:3]
	s_mov_b64 exec, s[2:3]
	s_cbranch_execz .LBB4_221
; %bb.220:
	v_add_co_u32_e32 v6, vcc, 0x35000, v196
	v_addc_co_u32_e32 v7, vcc, 0, v197, vcc
	global_load_dwordx2 a[208:209], v[6:7], off
.LBB4_221:
	s_or_b64 exec, exec, s[0:1]
	v_or_b32_e32 v0, 0x6b00, v248
	v_cmp_gt_u32_e64 s[2:3], s33, v0
                                        ; implicit-def: $agpr210_agpr211
	s_mov_b64 s[0:1], exec
	v_writelane_b32 v252, s2, 30
	v_writelane_b32 v252, s3, 31
	s_and_b64 s[2:3], s[0:1], s[2:3]
	s_mov_b64 exec, s[2:3]
	s_cbranch_execz .LBB4_223
; %bb.222:
	v_add_co_u32_e32 v6, vcc, 0x35000, v196
	v_addc_co_u32_e32 v7, vcc, 0, v197, vcc
	global_load_dwordx2 a[210:211], v[6:7], off offset:2048
.LBB4_223:
	s_or_b64 exec, exec, s[0:1]
	v_or_b32_e32 v0, 0x6c00, v248
	v_cmp_gt_u32_e64 s[2:3], s33, v0
                                        ; implicit-def: $agpr212_agpr213
	s_mov_b64 s[0:1], exec
	v_writelane_b32 v252, s2, 32
	v_writelane_b32 v252, s3, 33
	s_and_b64 s[2:3], s[0:1], s[2:3]
	s_mov_b64 exec, s[2:3]
	s_cbranch_execz .LBB4_225
; %bb.224:
	v_add_co_u32_e32 v6, vcc, 0x36000, v196
	v_addc_co_u32_e32 v7, vcc, 0, v197, vcc
	global_load_dwordx2 a[212:213], v[6:7], off
.LBB4_225:
	s_or_b64 exec, exec, s[0:1]
	v_or_b32_e32 v0, 0x6d00, v248
	v_cmp_gt_u32_e64 s[2:3], s33, v0
                                        ; implicit-def: $agpr214_agpr215
	s_mov_b64 s[0:1], exec
	v_writelane_b32 v252, s2, 34
	v_writelane_b32 v252, s3, 35
	s_and_b64 s[2:3], s[0:1], s[2:3]
	s_mov_b64 exec, s[2:3]
	s_cbranch_execz .LBB4_227
; %bb.226:
	v_add_co_u32_e32 v6, vcc, 0x36000, v196
	v_addc_co_u32_e32 v7, vcc, 0, v197, vcc
	global_load_dwordx2 a[214:215], v[6:7], off offset:2048
.LBB4_227:
	s_or_b64 exec, exec, s[0:1]
	v_or_b32_e32 v0, 0x6e00, v248
	v_cmp_gt_u32_e64 s[2:3], s33, v0
                                        ; implicit-def: $agpr216_agpr217
	s_mov_b64 s[0:1], exec
	v_writelane_b32 v252, s2, 36
	v_writelane_b32 v252, s3, 37
	s_and_b64 s[2:3], s[0:1], s[2:3]
	s_mov_b64 exec, s[2:3]
	s_cbranch_execz .LBB4_229
; %bb.228:
	v_add_co_u32_e32 v6, vcc, 0x37000, v196
	v_addc_co_u32_e32 v7, vcc, 0, v197, vcc
	global_load_dwordx2 a[216:217], v[6:7], off
.LBB4_229:
	s_or_b64 exec, exec, s[0:1]
	v_or_b32_e32 v0, 0x6f00, v248
	v_cmp_gt_u32_e64 s[2:3], s33, v0
                                        ; implicit-def: $agpr218_agpr219
	s_mov_b64 s[0:1], exec
	v_writelane_b32 v252, s2, 38
	v_writelane_b32 v252, s3, 39
	s_and_b64 s[2:3], s[0:1], s[2:3]
	s_mov_b64 exec, s[2:3]
	s_cbranch_execz .LBB4_231
; %bb.230:
	v_add_co_u32_e32 v6, vcc, 0x37000, v196
	v_addc_co_u32_e32 v7, vcc, 0, v197, vcc
	global_load_dwordx2 a[218:219], v[6:7], off offset:2048
.LBB4_231:
	s_or_b64 exec, exec, s[0:1]
	v_or_b32_e32 v0, 0x7000, v248
	v_cmp_gt_u32_e64 s[2:3], s33, v0
                                        ; implicit-def: $agpr220_agpr221
	s_mov_b64 s[0:1], exec
	v_writelane_b32 v252, s2, 40
	v_writelane_b32 v252, s3, 41
	s_and_b64 s[2:3], s[0:1], s[2:3]
	s_mov_b64 exec, s[2:3]
	s_cbranch_execz .LBB4_233
; %bb.232:
	v_add_co_u32_e32 v6, vcc, 0x38000, v196
	v_addc_co_u32_e32 v7, vcc, 0, v197, vcc
	global_load_dwordx2 a[220:221], v[6:7], off
.LBB4_233:
	s_or_b64 exec, exec, s[0:1]
	v_or_b32_e32 v0, 0x7100, v248
	v_cmp_gt_u32_e64 s[2:3], s33, v0
                                        ; implicit-def: $agpr222_agpr223
	s_mov_b64 s[0:1], exec
	v_writelane_b32 v252, s2, 42
	v_writelane_b32 v252, s3, 43
	s_and_b64 s[2:3], s[0:1], s[2:3]
	s_mov_b64 exec, s[2:3]
	s_cbranch_execz .LBB4_235
; %bb.234:
	v_add_co_u32_e32 v6, vcc, 0x38000, v196
	v_addc_co_u32_e32 v7, vcc, 0, v197, vcc
	global_load_dwordx2 a[222:223], v[6:7], off offset:2048
.LBB4_235:
	s_or_b64 exec, exec, s[0:1]
	v_or_b32_e32 v0, 0x7200, v248
	v_cmp_gt_u32_e64 s[2:3], s33, v0
                                        ; implicit-def: $agpr224_agpr225
	s_mov_b64 s[0:1], exec
	v_writelane_b32 v252, s2, 44
	v_writelane_b32 v252, s3, 45
	s_and_b64 s[2:3], s[0:1], s[2:3]
	s_mov_b64 exec, s[2:3]
	s_cbranch_execz .LBB4_237
; %bb.236:
	v_add_co_u32_e32 v6, vcc, 0x39000, v196
	v_addc_co_u32_e32 v7, vcc, 0, v197, vcc
	global_load_dwordx2 a[224:225], v[6:7], off
.LBB4_237:
	s_or_b64 exec, exec, s[0:1]
	v_or_b32_e32 v0, 0x7300, v248
	v_cmp_gt_u32_e64 s[2:3], s33, v0
                                        ; implicit-def: $agpr226_agpr227
	s_mov_b64 s[0:1], exec
	v_writelane_b32 v252, s2, 46
	v_writelane_b32 v252, s3, 47
	s_and_b64 s[2:3], s[0:1], s[2:3]
	s_mov_b64 exec, s[2:3]
	s_cbranch_execz .LBB4_239
; %bb.238:
	v_add_co_u32_e32 v6, vcc, 0x39000, v196
	v_addc_co_u32_e32 v7, vcc, 0, v197, vcc
	global_load_dwordx2 a[226:227], v[6:7], off offset:2048
.LBB4_239:
	s_or_b64 exec, exec, s[0:1]
	v_or_b32_e32 v0, 0x7400, v248
	v_cmp_gt_u32_e64 s[2:3], s33, v0
                                        ; implicit-def: $agpr228_agpr229
	s_mov_b64 s[0:1], exec
	v_writelane_b32 v252, s2, 48
	v_writelane_b32 v252, s3, 49
	s_and_b64 s[2:3], s[0:1], s[2:3]
	s_mov_b64 exec, s[2:3]
	s_cbranch_execz .LBB4_241
; %bb.240:
	v_add_co_u32_e32 v6, vcc, 0x3a000, v196
	v_addc_co_u32_e32 v7, vcc, 0, v197, vcc
	global_load_dwordx2 a[228:229], v[6:7], off
.LBB4_241:
	s_or_b64 exec, exec, s[0:1]
	v_or_b32_e32 v0, 0x7500, v248
	v_cmp_gt_u32_e64 s[2:3], s33, v0
                                        ; implicit-def: $agpr230_agpr231
	s_mov_b64 s[0:1], exec
	v_writelane_b32 v252, s2, 50
	v_writelane_b32 v252, s3, 51
	s_and_b64 s[2:3], s[0:1], s[2:3]
	s_mov_b64 exec, s[2:3]
	s_cbranch_execz .LBB4_243
; %bb.242:
	v_add_co_u32_e32 v6, vcc, 0x3a000, v196
	v_addc_co_u32_e32 v7, vcc, 0, v197, vcc
	global_load_dwordx2 a[230:231], v[6:7], off offset:2048
.LBB4_243:
	s_or_b64 exec, exec, s[0:1]
	v_or_b32_e32 v0, 0x7600, v248
	v_cmp_gt_u32_e64 s[2:3], s33, v0
                                        ; implicit-def: $agpr232_agpr233
	s_mov_b64 s[0:1], exec
	v_writelane_b32 v252, s2, 52
	v_writelane_b32 v252, s3, 53
	s_and_b64 s[2:3], s[0:1], s[2:3]
	s_mov_b64 exec, s[2:3]
	s_cbranch_execz .LBB4_245
; %bb.244:
	v_add_co_u32_e32 v6, vcc, 0x3b000, v196
	v_addc_co_u32_e32 v7, vcc, 0, v197, vcc
	global_load_dwordx2 a[232:233], v[6:7], off
.LBB4_245:
	s_or_b64 exec, exec, s[0:1]
	v_or_b32_e32 v0, 0x7700, v248
	v_cmp_gt_u32_e64 s[2:3], s33, v0
                                        ; implicit-def: $agpr234_agpr235
	s_mov_b64 s[0:1], exec
	v_writelane_b32 v252, s2, 54
	v_writelane_b32 v252, s3, 55
	s_and_b64 s[2:3], s[0:1], s[2:3]
	s_mov_b64 exec, s[2:3]
	s_cbranch_execz .LBB4_247
; %bb.246:
	v_add_co_u32_e32 v6, vcc, 0x3b000, v196
	v_addc_co_u32_e32 v7, vcc, 0, v197, vcc
	global_load_dwordx2 a[234:235], v[6:7], off offset:2048
.LBB4_247:
	s_or_b64 exec, exec, s[0:1]
	v_or_b32_e32 v0, 0x7800, v248
	v_cmp_gt_u32_e64 s[2:3], s33, v0
                                        ; implicit-def: $agpr236_agpr237
	s_mov_b64 s[0:1], exec
	v_writelane_b32 v252, s2, 56
	v_writelane_b32 v252, s3, 57
	s_and_b64 s[2:3], s[0:1], s[2:3]
	s_mov_b64 exec, s[2:3]
	s_cbranch_execz .LBB4_249
; %bb.248:
	v_add_co_u32_e32 v6, vcc, 0x3c000, v196
	v_addc_co_u32_e32 v7, vcc, 0, v197, vcc
	global_load_dwordx2 a[236:237], v[6:7], off
.LBB4_249:
	s_or_b64 exec, exec, s[0:1]
	v_or_b32_e32 v0, 0x7900, v248
	v_cmp_gt_u32_e64 s[2:3], s33, v0
                                        ; implicit-def: $agpr238_agpr239
	s_mov_b64 s[0:1], exec
	v_writelane_b32 v252, s2, 58
	v_writelane_b32 v252, s3, 59
	s_and_b64 s[2:3], s[0:1], s[2:3]
	s_mov_b64 exec, s[2:3]
	s_cbranch_execz .LBB4_251
; %bb.250:
	v_add_co_u32_e32 v6, vcc, 0x3c000, v196
	v_addc_co_u32_e32 v7, vcc, 0, v197, vcc
	global_load_dwordx2 a[238:239], v[6:7], off offset:2048
.LBB4_251:
	s_or_b64 exec, exec, s[0:1]
	v_or_b32_e32 v0, 0x7a00, v248
	v_cmp_gt_u32_e64 s[2:3], s33, v0
                                        ; implicit-def: $agpr240_agpr241
	s_mov_b64 s[0:1], exec
	v_writelane_b32 v252, s2, 60
	v_writelane_b32 v252, s3, 61
	s_and_b64 s[2:3], s[0:1], s[2:3]
	s_mov_b64 exec, s[2:3]
	s_cbranch_execz .LBB4_253
; %bb.252:
	v_add_co_u32_e32 v6, vcc, 0x3d000, v196
	v_addc_co_u32_e32 v7, vcc, 0, v197, vcc
	global_load_dwordx2 a[240:241], v[6:7], off
.LBB4_253:
	s_or_b64 exec, exec, s[0:1]
	v_or_b32_e32 v0, 0x7b00, v248
	v_cmp_gt_u32_e64 s[2:3], s33, v0
                                        ; implicit-def: $agpr242_agpr243
	s_mov_b64 s[0:1], exec
	v_writelane_b32 v252, s2, 62
	v_writelane_b32 v252, s3, 63
	s_and_b64 s[2:3], s[0:1], s[2:3]
	s_mov_b64 exec, s[2:3]
	s_cbranch_execz .LBB4_255
; %bb.254:
	v_add_co_u32_e32 v6, vcc, 0x3d000, v196
	v_addc_co_u32_e32 v7, vcc, 0, v197, vcc
	global_load_dwordx2 a[242:243], v[6:7], off offset:2048
.LBB4_255:
	s_or_b64 exec, exec, s[0:1]
	v_or_b32_e32 v0, 0x7c00, v248
	v_cmp_gt_u32_e64 s[2:3], s33, v0
                                        ; implicit-def: $agpr244_agpr245
	s_mov_b64 s[0:1], exec
                                        ; implicit-def: $vgpr253 : SGPR spill to VGPR lane
	v_writelane_b32 v253, s2, 0
	v_writelane_b32 v253, s3, 1
	s_and_b64 s[2:3], s[0:1], s[2:3]
	s_mov_b64 exec, s[2:3]
	s_cbranch_execz .LBB4_257
; %bb.256:
	v_add_co_u32_e32 v6, vcc, 0x3e000, v196
	v_addc_co_u32_e32 v7, vcc, 0, v197, vcc
	global_load_dwordx2 a[244:245], v[6:7], off
.LBB4_257:
	s_or_b64 exec, exec, s[0:1]
	v_or_b32_e32 v0, 0x7d00, v248
	v_cmp_gt_u32_e64 s[2:3], s33, v0
                                        ; implicit-def: $agpr246_agpr247
	s_mov_b64 s[0:1], exec
	v_writelane_b32 v253, s2, 2
	v_writelane_b32 v253, s3, 3
	s_and_b64 s[2:3], s[0:1], s[2:3]
	s_mov_b64 exec, s[2:3]
	s_cbranch_execz .LBB4_259
; %bb.258:
	v_add_co_u32_e32 v6, vcc, 0x3e000, v196
	v_addc_co_u32_e32 v7, vcc, 0, v197, vcc
	global_load_dwordx2 a[246:247], v[6:7], off offset:2048
.LBB4_259:
	s_or_b64 exec, exec, s[0:1]
	v_or_b32_e32 v0, 0x7e00, v248
	v_cmp_gt_u32_e64 s[2:3], s33, v0
                                        ; implicit-def: $agpr248_agpr249
	s_mov_b64 s[0:1], exec
	v_writelane_b32 v253, s2, 4
	v_writelane_b32 v253, s3, 5
	s_and_b64 s[2:3], s[0:1], s[2:3]
	s_mov_b64 exec, s[2:3]
	s_cbranch_execz .LBB4_261
; %bb.260:
	v_add_co_u32_e32 v6, vcc, 0x3f000, v196
	v_addc_co_u32_e32 v7, vcc, 0, v197, vcc
	global_load_dwordx2 a[248:249], v[6:7], off
.LBB4_261:
	s_or_b64 exec, exec, s[0:1]
	v_or_b32_e32 v0, 0x7f00, v248
	v_cmp_gt_u32_e64 s[2:3], s33, v0
                                        ; implicit-def: $agpr250_agpr251
	s_mov_b64 s[0:1], exec
	v_writelane_b32 v253, s2, 6
	v_writelane_b32 v253, s3, 7
	s_and_b64 s[2:3], s[0:1], s[2:3]
	s_mov_b64 exec, s[2:3]
	s_cbranch_execz .LBB4_263
; %bb.262:
	v_add_co_u32_e32 v6, vcc, 0x3f000, v196
	v_addc_co_u32_e32 v7, vcc, 0, v197, vcc
	global_load_dwordx2 a[250:251], v[6:7], off offset:2048
.LBB4_263:
	s_or_b64 exec, exec, s[0:1]
	v_or_b32_e32 v0, 0x8000, v248
	v_cmp_gt_u32_e64 s[2:3], s33, v0
                                        ; implicit-def: $agpr252_agpr253
	s_mov_b64 s[0:1], exec
	v_writelane_b32 v253, s2, 8
	v_writelane_b32 v253, s3, 9
	s_and_b64 s[2:3], s[0:1], s[2:3]
	s_mov_b64 exec, s[2:3]
	s_cbranch_execz .LBB4_265
; %bb.264:
	v_add_co_u32_e32 v6, vcc, 0x40000, v196
	v_addc_co_u32_e32 v7, vcc, 0, v197, vcc
	global_load_dwordx2 a[252:253], v[6:7], off
.LBB4_265:
	s_or_b64 exec, exec, s[0:1]
	v_or_b32_e32 v0, 0x8100, v248
	v_cmp_gt_u32_e64 s[2:3], s33, v0
                                        ; implicit-def: $agpr254_agpr255
	s_mov_b64 s[0:1], exec
	v_writelane_b32 v253, s2, 10
	v_writelane_b32 v253, s3, 11
	s_and_b64 s[2:3], s[0:1], s[2:3]
	s_mov_b64 exec, s[2:3]
	s_cbranch_execz .LBB4_267
; %bb.266:
	v_add_co_u32_e32 v6, vcc, 0x40000, v196
	v_addc_co_u32_e32 v7, vcc, 0, v197, vcc
	global_load_dwordx2 a[254:255], v[6:7], off offset:2048
.LBB4_267:
	s_or_b64 exec, exec, s[0:1]
	v_or_b32_e32 v0, 0x8200, v248
	v_cmp_gt_u32_e64 s[2:3], s33, v0
                                        ; implicit-def: $agpr0_agpr1
	s_mov_b64 s[0:1], exec
	v_writelane_b32 v253, s2, 12
	v_writelane_b32 v253, s3, 13
	s_and_b64 s[2:3], s[0:1], s[2:3]
	s_mov_b64 exec, s[2:3]
	s_cbranch_execz .LBB4_269
; %bb.268:
	v_add_co_u32_e32 v6, vcc, 0x41000, v196
	v_addc_co_u32_e32 v7, vcc, 0, v197, vcc
	global_load_dwordx2 a[0:1], v[6:7], off
.LBB4_269:
	s_or_b64 exec, exec, s[0:1]
	v_or_b32_e32 v0, 0x8300, v248
	v_cmp_gt_u32_e64 s[2:3], s33, v0
                                        ; implicit-def: $agpr2_agpr3
	s_mov_b64 s[0:1], exec
	v_writelane_b32 v253, s2, 14
	v_writelane_b32 v253, s3, 15
	s_and_b64 s[2:3], s[0:1], s[2:3]
	s_mov_b64 exec, s[2:3]
	s_cbranch_execz .LBB4_271
; %bb.270:
	v_add_co_u32_e32 v6, vcc, 0x41000, v196
	v_addc_co_u32_e32 v7, vcc, 0, v197, vcc
	global_load_dwordx2 a[2:3], v[6:7], off offset:2048
.LBB4_271:
	s_or_b64 exec, exec, s[0:1]
	v_or_b32_e32 v0, 0x8400, v248
	v_cmp_gt_u32_e64 s[2:3], s33, v0
                                        ; implicit-def: $agpr4_agpr5
	s_mov_b64 s[0:1], exec
	v_writelane_b32 v253, s2, 16
	v_writelane_b32 v253, s3, 17
	s_and_b64 s[2:3], s[0:1], s[2:3]
	s_mov_b64 exec, s[2:3]
	s_cbranch_execz .LBB4_273
; %bb.272:
	v_add_co_u32_e32 v6, vcc, 0x42000, v196
	v_addc_co_u32_e32 v7, vcc, 0, v197, vcc
	global_load_dwordx2 a[4:5], v[6:7], off
.LBB4_273:
	s_or_b64 exec, exec, s[0:1]
	v_or_b32_e32 v0, 0x8500, v248
	v_cmp_gt_u32_e64 s[2:3], s33, v0
                                        ; implicit-def: $agpr6_agpr7
	s_mov_b64 s[0:1], exec
	v_writelane_b32 v253, s2, 18
	v_writelane_b32 v253, s3, 19
	s_and_b64 s[2:3], s[0:1], s[2:3]
	s_mov_b64 exec, s[2:3]
	s_cbranch_execz .LBB4_275
; %bb.274:
	v_add_co_u32_e32 v6, vcc, 0x42000, v196
	v_addc_co_u32_e32 v7, vcc, 0, v197, vcc
	global_load_dwordx2 a[6:7], v[6:7], off offset:2048
.LBB4_275:
	s_or_b64 exec, exec, s[0:1]
	v_or_b32_e32 v0, 0x8600, v248
	v_cmp_gt_u32_e64 s[2:3], s33, v0
                                        ; implicit-def: $agpr8_agpr9
	s_mov_b64 s[0:1], exec
	v_writelane_b32 v253, s2, 20
	v_writelane_b32 v253, s3, 21
	s_and_b64 s[2:3], s[0:1], s[2:3]
	s_mov_b64 exec, s[2:3]
	s_cbranch_execz .LBB4_277
; %bb.276:
	v_add_co_u32_e32 v6, vcc, 0x43000, v196
	v_addc_co_u32_e32 v7, vcc, 0, v197, vcc
	global_load_dwordx2 a[8:9], v[6:7], off
.LBB4_277:
	s_or_b64 exec, exec, s[0:1]
	v_or_b32_e32 v0, 0x8700, v248
	v_cmp_gt_u32_e64 s[2:3], s33, v0
                                        ; implicit-def: $agpr10_agpr11
	s_mov_b64 s[0:1], exec
	v_writelane_b32 v253, s2, 22
	v_writelane_b32 v253, s3, 23
	s_and_b64 s[2:3], s[0:1], s[2:3]
	s_mov_b64 exec, s[2:3]
	s_cbranch_execz .LBB4_279
; %bb.278:
	v_add_co_u32_e32 v6, vcc, 0x43000, v196
	v_addc_co_u32_e32 v7, vcc, 0, v197, vcc
	global_load_dwordx2 a[10:11], v[6:7], off offset:2048
.LBB4_279:
	s_or_b64 exec, exec, s[0:1]
	v_or_b32_e32 v0, 0x8800, v248
	v_cmp_gt_u32_e64 s[2:3], s33, v0
                                        ; implicit-def: $vgpr34_vgpr35
	s_mov_b64 s[0:1], exec
	v_writelane_b32 v253, s2, 24
	v_writelane_b32 v253, s3, 25
	s_and_b64 s[2:3], s[0:1], s[2:3]
	s_mov_b64 exec, s[2:3]
	s_cbranch_execz .LBB4_281
; %bb.280:
	v_add_co_u32_e32 v6, vcc, 0x44000, v196
	v_addc_co_u32_e32 v7, vcc, 0, v197, vcc
	global_load_dwordx2 v[34:35], v[6:7], off
.LBB4_281:
	s_or_b64 exec, exec, s[0:1]
	v_or_b32_e32 v0, 0x8900, v248
	v_cmp_gt_u32_e64 s[2:3], s33, v0
                                        ; implicit-def: $vgpr36_vgpr37
	s_mov_b64 s[0:1], exec
	v_writelane_b32 v253, s2, 26
	v_writelane_b32 v253, s3, 27
	s_and_b64 s[2:3], s[0:1], s[2:3]
	s_mov_b64 exec, s[2:3]
	s_cbranch_execz .LBB4_283
; %bb.282:
	v_add_co_u32_e32 v6, vcc, 0x44000, v196
	v_addc_co_u32_e32 v7, vcc, 0, v197, vcc
	global_load_dwordx2 v[36:37], v[6:7], off offset:2048
.LBB4_283:
	s_or_b64 exec, exec, s[0:1]
	v_or_b32_e32 v0, 0x8a00, v248
	v_cmp_gt_u32_e64 s[2:3], s33, v0
                                        ; implicit-def: $vgpr38_vgpr39
	s_mov_b64 s[0:1], exec
	v_writelane_b32 v253, s2, 28
	v_writelane_b32 v253, s3, 29
	s_and_b64 s[2:3], s[0:1], s[2:3]
	s_mov_b64 exec, s[2:3]
	s_cbranch_execz .LBB4_285
; %bb.284:
	v_add_co_u32_e32 v6, vcc, 0x45000, v196
	v_addc_co_u32_e32 v7, vcc, 0, v197, vcc
	global_load_dwordx2 v[38:39], v[6:7], off
.LBB4_285:
	s_or_b64 exec, exec, s[0:1]
	v_or_b32_e32 v0, 0x8b00, v248
	v_cmp_gt_u32_e64 s[2:3], s33, v0
                                        ; implicit-def: $vgpr40_vgpr41
	s_mov_b64 s[0:1], exec
	v_writelane_b32 v253, s2, 30
	v_writelane_b32 v253, s3, 31
	s_and_b64 s[2:3], s[0:1], s[2:3]
	s_mov_b64 exec, s[2:3]
	s_cbranch_execz .LBB4_287
; %bb.286:
	v_add_co_u32_e32 v6, vcc, 0x45000, v196
	v_addc_co_u32_e32 v7, vcc, 0, v197, vcc
	global_load_dwordx2 v[40:41], v[6:7], off offset:2048
.LBB4_287:
	s_or_b64 exec, exec, s[0:1]
	v_or_b32_e32 v0, 0x8c00, v248
	v_cmp_gt_u32_e64 s[2:3], s33, v0
                                        ; implicit-def: $vgpr42_vgpr43
	s_mov_b64 s[0:1], exec
	v_writelane_b32 v253, s2, 32
	v_writelane_b32 v253, s3, 33
	s_and_b64 s[2:3], s[0:1], s[2:3]
	s_mov_b64 exec, s[2:3]
	s_cbranch_execz .LBB4_289
; %bb.288:
	v_add_co_u32_e32 v6, vcc, 0x46000, v196
	v_addc_co_u32_e32 v7, vcc, 0, v197, vcc
	global_load_dwordx2 v[42:43], v[6:7], off
.LBB4_289:
	s_or_b64 exec, exec, s[0:1]
	v_or_b32_e32 v0, 0x8d00, v248
	v_cmp_gt_u32_e64 s[2:3], s33, v0
                                        ; implicit-def: $vgpr44_vgpr45
	s_mov_b64 s[0:1], exec
	v_writelane_b32 v253, s2, 34
	v_writelane_b32 v253, s3, 35
	s_and_b64 s[2:3], s[0:1], s[2:3]
	s_mov_b64 exec, s[2:3]
	s_cbranch_execz .LBB4_291
; %bb.290:
	v_add_co_u32_e32 v6, vcc, 0x46000, v196
	v_addc_co_u32_e32 v7, vcc, 0, v197, vcc
	global_load_dwordx2 v[44:45], v[6:7], off offset:2048
.LBB4_291:
	s_or_b64 exec, exec, s[0:1]
	v_or_b32_e32 v0, 0x8e00, v248
	v_cmp_gt_u32_e64 s[2:3], s33, v0
                                        ; implicit-def: $vgpr46_vgpr47
	s_mov_b64 s[0:1], exec
	v_writelane_b32 v253, s2, 36
	v_writelane_b32 v253, s3, 37
	s_and_b64 s[2:3], s[0:1], s[2:3]
	s_mov_b64 exec, s[2:3]
	s_cbranch_execz .LBB4_293
; %bb.292:
	v_add_co_u32_e32 v6, vcc, 0x47000, v196
	v_addc_co_u32_e32 v7, vcc, 0, v197, vcc
	global_load_dwordx2 v[46:47], v[6:7], off
.LBB4_293:
	s_or_b64 exec, exec, s[0:1]
	v_or_b32_e32 v0, 0x8f00, v248
	v_cmp_gt_u32_e64 s[2:3], s33, v0
                                        ; implicit-def: $vgpr48_vgpr49
	s_mov_b64 s[0:1], exec
	v_writelane_b32 v253, s2, 38
	v_writelane_b32 v253, s3, 39
	s_and_b64 s[2:3], s[0:1], s[2:3]
	s_mov_b64 exec, s[2:3]
	s_cbranch_execz .LBB4_295
; %bb.294:
	v_add_co_u32_e32 v6, vcc, 0x47000, v196
	v_addc_co_u32_e32 v7, vcc, 0, v197, vcc
	global_load_dwordx2 v[48:49], v[6:7], off offset:2048
.LBB4_295:
	s_or_b64 exec, exec, s[0:1]
	v_or_b32_e32 v0, 0x9000, v248
	v_cmp_gt_u32_e64 s[2:3], s33, v0
                                        ; implicit-def: $vgpr50_vgpr51
	s_mov_b64 s[0:1], exec
	v_writelane_b32 v253, s2, 40
	v_writelane_b32 v253, s3, 41
	s_and_b64 s[2:3], s[0:1], s[2:3]
	s_mov_b64 exec, s[2:3]
	s_cbranch_execz .LBB4_297
; %bb.296:
	v_add_co_u32_e32 v6, vcc, 0x48000, v196
	v_addc_co_u32_e32 v7, vcc, 0, v197, vcc
	global_load_dwordx2 v[50:51], v[6:7], off
.LBB4_297:
	s_or_b64 exec, exec, s[0:1]
	v_or_b32_e32 v0, 0x9100, v248
	v_cmp_gt_u32_e64 s[2:3], s33, v0
                                        ; implicit-def: $vgpr52_vgpr53
	s_mov_b64 s[0:1], exec
	v_writelane_b32 v253, s2, 42
	v_writelane_b32 v253, s3, 43
	s_and_b64 s[2:3], s[0:1], s[2:3]
	s_mov_b64 exec, s[2:3]
	s_cbranch_execz .LBB4_299
; %bb.298:
	v_add_co_u32_e32 v6, vcc, 0x48000, v196
	v_addc_co_u32_e32 v7, vcc, 0, v197, vcc
	global_load_dwordx2 v[52:53], v[6:7], off offset:2048
.LBB4_299:
	s_or_b64 exec, exec, s[0:1]
	v_or_b32_e32 v0, 0x9200, v248
	v_cmp_gt_u32_e64 s[2:3], s33, v0
                                        ; implicit-def: $vgpr54_vgpr55
	s_mov_b64 s[0:1], exec
	v_writelane_b32 v253, s2, 44
	v_writelane_b32 v253, s3, 45
	s_and_b64 s[2:3], s[0:1], s[2:3]
	s_mov_b64 exec, s[2:3]
	s_cbranch_execz .LBB4_301
; %bb.300:
	v_add_co_u32_e32 v6, vcc, 0x49000, v196
	v_addc_co_u32_e32 v7, vcc, 0, v197, vcc
	global_load_dwordx2 v[54:55], v[6:7], off
.LBB4_301:
	s_or_b64 exec, exec, s[0:1]
	v_or_b32_e32 v0, 0x9300, v248
	v_cmp_gt_u32_e64 s[2:3], s33, v0
                                        ; implicit-def: $vgpr56_vgpr57
	s_mov_b64 s[0:1], exec
	v_writelane_b32 v253, s2, 46
	v_writelane_b32 v253, s3, 47
	s_and_b64 s[2:3], s[0:1], s[2:3]
	s_mov_b64 exec, s[2:3]
	s_cbranch_execz .LBB4_303
; %bb.302:
	v_add_co_u32_e32 v6, vcc, 0x49000, v196
	v_addc_co_u32_e32 v7, vcc, 0, v197, vcc
	global_load_dwordx2 v[56:57], v[6:7], off offset:2048
.LBB4_303:
	s_or_b64 exec, exec, s[0:1]
	v_or_b32_e32 v0, 0x9400, v248
	v_cmp_gt_u32_e64 s[2:3], s33, v0
                                        ; implicit-def: $vgpr58_vgpr59
	s_mov_b64 s[0:1], exec
	v_writelane_b32 v253, s2, 48
	v_writelane_b32 v253, s3, 49
	s_and_b64 s[2:3], s[0:1], s[2:3]
	s_mov_b64 exec, s[2:3]
	s_cbranch_execz .LBB4_305
; %bb.304:
	v_add_co_u32_e32 v6, vcc, 0x4a000, v196
	v_addc_co_u32_e32 v7, vcc, 0, v197, vcc
	global_load_dwordx2 v[58:59], v[6:7], off
.LBB4_305:
	s_or_b64 exec, exec, s[0:1]
	v_or_b32_e32 v0, 0x9500, v248
	v_cmp_gt_u32_e64 s[2:3], s33, v0
                                        ; implicit-def: $vgpr60_vgpr61
	s_mov_b64 s[0:1], exec
	v_writelane_b32 v253, s2, 50
	v_writelane_b32 v253, s3, 51
	s_and_b64 s[2:3], s[0:1], s[2:3]
	s_mov_b64 exec, s[2:3]
	s_cbranch_execz .LBB4_307
; %bb.306:
	v_add_co_u32_e32 v6, vcc, 0x4a000, v196
	v_addc_co_u32_e32 v7, vcc, 0, v197, vcc
	global_load_dwordx2 v[60:61], v[6:7], off offset:2048
.LBB4_307:
	s_or_b64 exec, exec, s[0:1]
	v_or_b32_e32 v0, 0x9600, v248
	v_cmp_gt_u32_e64 s[2:3], s33, v0
                                        ; implicit-def: $vgpr62_vgpr63
	s_mov_b64 s[0:1], exec
	v_writelane_b32 v253, s2, 52
	v_writelane_b32 v253, s3, 53
	s_and_b64 s[2:3], s[0:1], s[2:3]
	s_mov_b64 exec, s[2:3]
	s_cbranch_execz .LBB4_309
; %bb.308:
	v_add_co_u32_e32 v6, vcc, 0x4b000, v196
	v_addc_co_u32_e32 v7, vcc, 0, v197, vcc
	global_load_dwordx2 v[62:63], v[6:7], off
.LBB4_309:
	s_or_b64 exec, exec, s[0:1]
	v_or_b32_e32 v0, 0x9700, v248
	v_cmp_gt_u32_e64 s[2:3], s33, v0
                                        ; implicit-def: $vgpr64_vgpr65
	s_mov_b64 s[0:1], exec
	v_writelane_b32 v253, s2, 54
	v_writelane_b32 v253, s3, 55
	s_and_b64 s[2:3], s[0:1], s[2:3]
	s_mov_b64 exec, s[2:3]
	s_cbranch_execz .LBB4_311
; %bb.310:
	v_add_co_u32_e32 v6, vcc, 0x4b000, v196
	v_addc_co_u32_e32 v7, vcc, 0, v197, vcc
	global_load_dwordx2 v[64:65], v[6:7], off offset:2048
.LBB4_311:
	s_or_b64 exec, exec, s[0:1]
	v_or_b32_e32 v0, 0x9800, v248
	v_cmp_gt_u32_e64 s[2:3], s33, v0
                                        ; implicit-def: $vgpr66_vgpr67
	s_mov_b64 s[0:1], exec
	v_writelane_b32 v253, s2, 56
	v_writelane_b32 v253, s3, 57
	s_and_b64 s[2:3], s[0:1], s[2:3]
	s_mov_b64 exec, s[2:3]
	s_cbranch_execz .LBB4_313
; %bb.312:
	v_add_co_u32_e32 v6, vcc, 0x4c000, v196
	v_addc_co_u32_e32 v7, vcc, 0, v197, vcc
	global_load_dwordx2 v[66:67], v[6:7], off
.LBB4_313:
	s_or_b64 exec, exec, s[0:1]
	v_or_b32_e32 v0, 0x9900, v248
	v_cmp_gt_u32_e64 s[2:3], s33, v0
                                        ; implicit-def: $vgpr68_vgpr69
	s_mov_b64 s[0:1], exec
	v_writelane_b32 v253, s2, 58
	v_writelane_b32 v253, s3, 59
	s_and_b64 s[2:3], s[0:1], s[2:3]
	s_mov_b64 exec, s[2:3]
	s_cbranch_execz .LBB4_315
; %bb.314:
	v_add_co_u32_e32 v6, vcc, 0x4c000, v196
	v_addc_co_u32_e32 v7, vcc, 0, v197, vcc
	global_load_dwordx2 v[68:69], v[6:7], off offset:2048
.LBB4_315:
	s_or_b64 exec, exec, s[0:1]
	v_or_b32_e32 v0, 0x9a00, v248
	v_cmp_gt_u32_e64 s[2:3], s33, v0
                                        ; implicit-def: $vgpr70_vgpr71
	s_mov_b64 s[0:1], exec
	v_writelane_b32 v253, s2, 60
	v_writelane_b32 v253, s3, 61
	s_and_b64 s[2:3], s[0:1], s[2:3]
	s_mov_b64 exec, s[2:3]
	s_cbranch_execz .LBB4_317
; %bb.316:
	v_add_co_u32_e32 v6, vcc, 0x4d000, v196
	v_addc_co_u32_e32 v7, vcc, 0, v197, vcc
	global_load_dwordx2 v[70:71], v[6:7], off
.LBB4_317:
	s_or_b64 exec, exec, s[0:1]
	v_or_b32_e32 v0, 0x9b00, v248
	v_cmp_gt_u32_e64 s[2:3], s33, v0
                                        ; implicit-def: $vgpr72_vgpr73
	s_mov_b64 s[0:1], exec
	v_writelane_b32 v253, s2, 62
	v_writelane_b32 v253, s3, 63
	s_and_b64 s[2:3], s[0:1], s[2:3]
	s_mov_b64 exec, s[2:3]
	s_cbranch_execz .LBB4_319
; %bb.318:
	v_add_co_u32_e32 v6, vcc, 0x4d000, v196
	v_addc_co_u32_e32 v7, vcc, 0, v197, vcc
	global_load_dwordx2 v[72:73], v[6:7], off offset:2048
.LBB4_319:
	s_or_b64 exec, exec, s[0:1]
	v_or_b32_e32 v0, 0x9c00, v248
	v_cmp_gt_u32_e64 s[2:3], s33, v0
                                        ; implicit-def: $vgpr74_vgpr75
	s_mov_b64 s[0:1], exec
                                        ; implicit-def: $vgpr254 : SGPR spill to VGPR lane
	v_writelane_b32 v254, s2, 0
	v_writelane_b32 v254, s3, 1
	s_and_b64 s[2:3], s[0:1], s[2:3]
	s_mov_b64 exec, s[2:3]
	s_cbranch_execz .LBB4_321
; %bb.320:
	v_add_co_u32_e32 v6, vcc, 0x4e000, v196
	v_addc_co_u32_e32 v7, vcc, 0, v197, vcc
	global_load_dwordx2 v[74:75], v[6:7], off
.LBB4_321:
	s_or_b64 exec, exec, s[0:1]
	v_or_b32_e32 v0, 0x9d00, v248
	v_cmp_gt_u32_e64 s[2:3], s33, v0
                                        ; implicit-def: $vgpr76_vgpr77
	s_mov_b64 s[0:1], exec
	v_writelane_b32 v254, s2, 2
	v_writelane_b32 v254, s3, 3
	s_and_b64 s[2:3], s[0:1], s[2:3]
	s_mov_b64 exec, s[2:3]
	s_cbranch_execz .LBB4_323
; %bb.322:
	v_add_co_u32_e32 v6, vcc, 0x4e000, v196
	v_addc_co_u32_e32 v7, vcc, 0, v197, vcc
	global_load_dwordx2 v[76:77], v[6:7], off offset:2048
.LBB4_323:
	s_or_b64 exec, exec, s[0:1]
	v_or_b32_e32 v0, 0x9e00, v248
	v_cmp_gt_u32_e64 s[2:3], s33, v0
                                        ; implicit-def: $vgpr78_vgpr79
	s_mov_b64 s[0:1], exec
	v_writelane_b32 v254, s2, 4
	v_writelane_b32 v254, s3, 5
	s_and_b64 s[2:3], s[0:1], s[2:3]
	s_mov_b64 exec, s[2:3]
	s_cbranch_execz .LBB4_325
; %bb.324:
	v_add_co_u32_e32 v6, vcc, 0x4f000, v196
	v_addc_co_u32_e32 v7, vcc, 0, v197, vcc
	global_load_dwordx2 v[78:79], v[6:7], off
.LBB4_325:
	s_or_b64 exec, exec, s[0:1]
	v_or_b32_e32 v0, 0x9f00, v248
	v_cmp_gt_u32_e64 s[2:3], s33, v0
                                        ; implicit-def: $vgpr80_vgpr81
	s_mov_b64 s[0:1], exec
	v_writelane_b32 v254, s2, 6
	v_writelane_b32 v254, s3, 7
	s_and_b64 s[2:3], s[0:1], s[2:3]
	s_mov_b64 exec, s[2:3]
	s_cbranch_execz .LBB4_327
; %bb.326:
	v_add_co_u32_e32 v6, vcc, 0x4f000, v196
	v_addc_co_u32_e32 v7, vcc, 0, v197, vcc
	global_load_dwordx2 v[80:81], v[6:7], off offset:2048
.LBB4_327:
	s_or_b64 exec, exec, s[0:1]
	v_or_b32_e32 v0, 0xa000, v248
	v_cmp_gt_u32_e64 s[2:3], s33, v0
                                        ; implicit-def: $vgpr82_vgpr83
	s_mov_b64 s[0:1], exec
	v_writelane_b32 v254, s2, 8
	v_writelane_b32 v254, s3, 9
	s_and_b64 s[2:3], s[0:1], s[2:3]
	s_mov_b64 exec, s[2:3]
	s_cbranch_execz .LBB4_329
; %bb.328:
	v_add_co_u32_e32 v6, vcc, 0x50000, v196
	v_addc_co_u32_e32 v7, vcc, 0, v197, vcc
	global_load_dwordx2 v[82:83], v[6:7], off
.LBB4_329:
	s_or_b64 exec, exec, s[0:1]
	v_or_b32_e32 v0, 0xa100, v248
	v_cmp_gt_u32_e64 s[2:3], s33, v0
                                        ; implicit-def: $vgpr84_vgpr85
	s_mov_b64 s[0:1], exec
	v_writelane_b32 v254, s2, 10
	v_writelane_b32 v254, s3, 11
	s_and_b64 s[2:3], s[0:1], s[2:3]
	s_mov_b64 exec, s[2:3]
	s_cbranch_execz .LBB4_331
; %bb.330:
	v_add_co_u32_e32 v6, vcc, 0x50000, v196
	v_addc_co_u32_e32 v7, vcc, 0, v197, vcc
	global_load_dwordx2 v[84:85], v[6:7], off offset:2048
.LBB4_331:
	s_or_b64 exec, exec, s[0:1]
	v_or_b32_e32 v0, 0xa200, v248
	v_cmp_gt_u32_e64 s[2:3], s33, v0
                                        ; implicit-def: $vgpr86_vgpr87
	s_mov_b64 s[0:1], exec
	v_writelane_b32 v254, s2, 12
	v_writelane_b32 v254, s3, 13
	s_and_b64 s[2:3], s[0:1], s[2:3]
	s_mov_b64 exec, s[2:3]
	s_cbranch_execz .LBB4_333
; %bb.332:
	v_add_co_u32_e32 v6, vcc, 0x51000, v196
	v_addc_co_u32_e32 v7, vcc, 0, v197, vcc
	global_load_dwordx2 v[86:87], v[6:7], off
.LBB4_333:
	s_or_b64 exec, exec, s[0:1]
	v_or_b32_e32 v0, 0xa300, v248
	v_cmp_gt_u32_e64 s[2:3], s33, v0
                                        ; implicit-def: $vgpr88_vgpr89
	s_mov_b64 s[0:1], exec
	v_writelane_b32 v254, s2, 14
	v_writelane_b32 v254, s3, 15
	s_and_b64 s[2:3], s[0:1], s[2:3]
	s_mov_b64 exec, s[2:3]
	s_cbranch_execz .LBB4_335
; %bb.334:
	v_add_co_u32_e32 v6, vcc, 0x51000, v196
	v_addc_co_u32_e32 v7, vcc, 0, v197, vcc
	global_load_dwordx2 v[88:89], v[6:7], off offset:2048
.LBB4_335:
	s_or_b64 exec, exec, s[0:1]
	v_or_b32_e32 v0, 0xa400, v248
	v_cmp_gt_u32_e64 s[2:3], s33, v0
                                        ; implicit-def: $vgpr90_vgpr91
	s_mov_b64 s[0:1], exec
	v_writelane_b32 v254, s2, 16
	v_writelane_b32 v254, s3, 17
	s_and_b64 s[2:3], s[0:1], s[2:3]
	s_mov_b64 exec, s[2:3]
	s_cbranch_execz .LBB4_337
; %bb.336:
	v_add_co_u32_e32 v6, vcc, 0x52000, v196
	v_addc_co_u32_e32 v7, vcc, 0, v197, vcc
	global_load_dwordx2 v[90:91], v[6:7], off
.LBB4_337:
	s_or_b64 exec, exec, s[0:1]
	v_or_b32_e32 v0, 0xa500, v248
	v_cmp_gt_u32_e64 s[2:3], s33, v0
                                        ; implicit-def: $vgpr92_vgpr93
	s_mov_b64 s[0:1], exec
	v_writelane_b32 v254, s2, 18
	v_writelane_b32 v254, s3, 19
	s_and_b64 s[2:3], s[0:1], s[2:3]
	s_mov_b64 exec, s[2:3]
	s_cbranch_execz .LBB4_339
; %bb.338:
	v_add_co_u32_e32 v6, vcc, 0x52000, v196
	v_addc_co_u32_e32 v7, vcc, 0, v197, vcc
	global_load_dwordx2 v[92:93], v[6:7], off offset:2048
.LBB4_339:
	s_or_b64 exec, exec, s[0:1]
	v_or_b32_e32 v0, 0xa600, v248
	v_cmp_gt_u32_e64 s[2:3], s33, v0
                                        ; implicit-def: $vgpr94_vgpr95
	s_mov_b64 s[0:1], exec
	v_writelane_b32 v254, s2, 20
	v_writelane_b32 v254, s3, 21
	s_and_b64 s[2:3], s[0:1], s[2:3]
	s_mov_b64 exec, s[2:3]
	s_cbranch_execz .LBB4_341
; %bb.340:
	v_add_co_u32_e32 v6, vcc, 0x53000, v196
	v_addc_co_u32_e32 v7, vcc, 0, v197, vcc
	global_load_dwordx2 v[94:95], v[6:7], off
.LBB4_341:
	s_or_b64 exec, exec, s[0:1]
	v_or_b32_e32 v0, 0xa700, v248
	v_cmp_gt_u32_e64 s[2:3], s33, v0
                                        ; implicit-def: $vgpr96_vgpr97
	s_mov_b64 s[0:1], exec
	v_writelane_b32 v254, s2, 22
	v_writelane_b32 v254, s3, 23
	s_and_b64 s[2:3], s[0:1], s[2:3]
	s_mov_b64 exec, s[2:3]
	s_cbranch_execz .LBB4_343
; %bb.342:
	v_add_co_u32_e32 v6, vcc, 0x53000, v196
	v_addc_co_u32_e32 v7, vcc, 0, v197, vcc
	global_load_dwordx2 v[96:97], v[6:7], off offset:2048
.LBB4_343:
	s_or_b64 exec, exec, s[0:1]
	v_or_b32_e32 v0, 0xa800, v248
	v_cmp_gt_u32_e64 s[2:3], s33, v0
                                        ; implicit-def: $vgpr98_vgpr99
	s_mov_b64 s[0:1], exec
	v_writelane_b32 v254, s2, 24
	v_writelane_b32 v254, s3, 25
	s_and_b64 s[2:3], s[0:1], s[2:3]
	s_mov_b64 exec, s[2:3]
	s_cbranch_execz .LBB4_345
; %bb.344:
	v_add_co_u32_e32 v6, vcc, 0x54000, v196
	v_addc_co_u32_e32 v7, vcc, 0, v197, vcc
	global_load_dwordx2 v[98:99], v[6:7], off
.LBB4_345:
	s_or_b64 exec, exec, s[0:1]
	v_or_b32_e32 v0, 0xa900, v248
	v_cmp_gt_u32_e64 s[2:3], s33, v0
                                        ; implicit-def: $vgpr100_vgpr101
	s_mov_b64 s[0:1], exec
	v_writelane_b32 v254, s2, 26
	v_writelane_b32 v254, s3, 27
	s_and_b64 s[2:3], s[0:1], s[2:3]
	s_mov_b64 exec, s[2:3]
	s_cbranch_execz .LBB4_347
; %bb.346:
	v_add_co_u32_e32 v6, vcc, 0x54000, v196
	v_addc_co_u32_e32 v7, vcc, 0, v197, vcc
	global_load_dwordx2 v[100:101], v[6:7], off offset:2048
.LBB4_347:
	s_or_b64 exec, exec, s[0:1]
	v_or_b32_e32 v0, 0xaa00, v248
	v_cmp_gt_u32_e64 s[2:3], s33, v0
                                        ; implicit-def: $vgpr102_vgpr103
	s_mov_b64 s[0:1], exec
	v_writelane_b32 v254, s2, 28
	v_writelane_b32 v254, s3, 29
	s_and_b64 s[2:3], s[0:1], s[2:3]
	s_mov_b64 exec, s[2:3]
	s_cbranch_execz .LBB4_349
; %bb.348:
	v_add_co_u32_e32 v6, vcc, 0x55000, v196
	v_addc_co_u32_e32 v7, vcc, 0, v197, vcc
	global_load_dwordx2 v[102:103], v[6:7], off
.LBB4_349:
	s_or_b64 exec, exec, s[0:1]
	v_or_b32_e32 v0, 0xab00, v248
	v_cmp_gt_u32_e64 s[2:3], s33, v0
                                        ; implicit-def: $vgpr104_vgpr105
	s_mov_b64 s[0:1], exec
	v_writelane_b32 v254, s2, 30
	v_writelane_b32 v254, s3, 31
	s_and_b64 s[2:3], s[0:1], s[2:3]
	s_mov_b64 exec, s[2:3]
	s_cbranch_execz .LBB4_351
; %bb.350:
	v_add_co_u32_e32 v6, vcc, 0x55000, v196
	v_addc_co_u32_e32 v7, vcc, 0, v197, vcc
	global_load_dwordx2 v[104:105], v[6:7], off offset:2048
.LBB4_351:
	s_or_b64 exec, exec, s[0:1]
	v_or_b32_e32 v0, 0xac00, v248
	v_cmp_gt_u32_e64 s[2:3], s33, v0
                                        ; implicit-def: $vgpr106_vgpr107
	s_mov_b64 s[0:1], exec
	v_writelane_b32 v254, s2, 32
	v_writelane_b32 v254, s3, 33
	s_and_b64 s[2:3], s[0:1], s[2:3]
	s_mov_b64 exec, s[2:3]
	s_cbranch_execz .LBB4_353
; %bb.352:
	v_add_co_u32_e32 v6, vcc, 0x56000, v196
	v_addc_co_u32_e32 v7, vcc, 0, v197, vcc
	global_load_dwordx2 v[106:107], v[6:7], off
.LBB4_353:
	s_or_b64 exec, exec, s[0:1]
	v_or_b32_e32 v0, 0xad00, v248
	v_cmp_gt_u32_e64 s[2:3], s33, v0
                                        ; implicit-def: $vgpr108_vgpr109
	s_mov_b64 s[0:1], exec
	v_writelane_b32 v254, s2, 34
	v_writelane_b32 v254, s3, 35
	s_and_b64 s[2:3], s[0:1], s[2:3]
	s_mov_b64 exec, s[2:3]
	s_cbranch_execz .LBB4_355
; %bb.354:
	v_add_co_u32_e32 v6, vcc, 0x56000, v196
	v_addc_co_u32_e32 v7, vcc, 0, v197, vcc
	global_load_dwordx2 v[108:109], v[6:7], off offset:2048
.LBB4_355:
	s_or_b64 exec, exec, s[0:1]
	v_or_b32_e32 v0, 0xae00, v248
	v_cmp_gt_u32_e64 s[2:3], s33, v0
                                        ; implicit-def: $vgpr110_vgpr111
	s_mov_b64 s[0:1], exec
	v_writelane_b32 v254, s2, 36
	v_writelane_b32 v254, s3, 37
	s_and_b64 s[2:3], s[0:1], s[2:3]
	s_mov_b64 exec, s[2:3]
	s_cbranch_execz .LBB4_357
; %bb.356:
	v_add_co_u32_e32 v6, vcc, 0x57000, v196
	v_addc_co_u32_e32 v7, vcc, 0, v197, vcc
	global_load_dwordx2 v[110:111], v[6:7], off
.LBB4_357:
	s_or_b64 exec, exec, s[0:1]
	v_or_b32_e32 v0, 0xaf00, v248
	v_cmp_gt_u32_e64 s[2:3], s33, v0
                                        ; implicit-def: $vgpr112_vgpr113
	s_mov_b64 s[0:1], exec
	v_writelane_b32 v254, s2, 38
	v_writelane_b32 v254, s3, 39
	s_and_b64 s[2:3], s[0:1], s[2:3]
	s_mov_b64 exec, s[2:3]
	s_cbranch_execz .LBB4_359
; %bb.358:
	v_add_co_u32_e32 v6, vcc, 0x57000, v196
	v_addc_co_u32_e32 v7, vcc, 0, v197, vcc
	global_load_dwordx2 v[112:113], v[6:7], off offset:2048
.LBB4_359:
	s_or_b64 exec, exec, s[0:1]
	v_or_b32_e32 v0, 0xb000, v248
	v_cmp_gt_u32_e64 s[2:3], s33, v0
                                        ; implicit-def: $vgpr114_vgpr115
	s_mov_b64 s[0:1], exec
	v_writelane_b32 v254, s2, 40
	v_writelane_b32 v254, s3, 41
	s_and_b64 s[2:3], s[0:1], s[2:3]
	s_mov_b64 exec, s[2:3]
	s_cbranch_execz .LBB4_361
; %bb.360:
	v_add_co_u32_e32 v6, vcc, 0x58000, v196
	v_addc_co_u32_e32 v7, vcc, 0, v197, vcc
	global_load_dwordx2 v[114:115], v[6:7], off
.LBB4_361:
	s_or_b64 exec, exec, s[0:1]
	v_or_b32_e32 v0, 0xb100, v248
	v_cmp_gt_u32_e64 s[2:3], s33, v0
                                        ; implicit-def: $vgpr116_vgpr117
	s_mov_b64 s[0:1], exec
	v_writelane_b32 v254, s2, 42
	v_writelane_b32 v254, s3, 43
	s_and_b64 s[2:3], s[0:1], s[2:3]
	s_mov_b64 exec, s[2:3]
	s_cbranch_execz .LBB4_363
; %bb.362:
	v_add_co_u32_e32 v6, vcc, 0x58000, v196
	v_addc_co_u32_e32 v7, vcc, 0, v197, vcc
	global_load_dwordx2 v[116:117], v[6:7], off offset:2048
.LBB4_363:
	s_or_b64 exec, exec, s[0:1]
	v_or_b32_e32 v0, 0xb200, v248
	v_cmp_gt_u32_e64 s[2:3], s33, v0
                                        ; implicit-def: $vgpr118_vgpr119
	s_mov_b64 s[0:1], exec
	v_writelane_b32 v254, s2, 44
	v_writelane_b32 v254, s3, 45
	s_and_b64 s[2:3], s[0:1], s[2:3]
	s_mov_b64 exec, s[2:3]
	s_cbranch_execz .LBB4_365
; %bb.364:
	v_add_co_u32_e32 v6, vcc, 0x59000, v196
	v_addc_co_u32_e32 v7, vcc, 0, v197, vcc
	global_load_dwordx2 v[118:119], v[6:7], off
.LBB4_365:
	s_or_b64 exec, exec, s[0:1]
	v_or_b32_e32 v0, 0xb300, v248
	v_cmp_gt_u32_e64 s[2:3], s33, v0
                                        ; implicit-def: $vgpr120_vgpr121
	s_mov_b64 s[0:1], exec
	v_writelane_b32 v254, s2, 46
	v_writelane_b32 v254, s3, 47
	s_and_b64 s[2:3], s[0:1], s[2:3]
	s_mov_b64 exec, s[2:3]
	s_cbranch_execz .LBB4_367
; %bb.366:
	v_add_co_u32_e32 v6, vcc, 0x59000, v196
	v_addc_co_u32_e32 v7, vcc, 0, v197, vcc
	global_load_dwordx2 v[120:121], v[6:7], off offset:2048
.LBB4_367:
	s_or_b64 exec, exec, s[0:1]
	v_or_b32_e32 v0, 0xb400, v248
	v_cmp_gt_u32_e64 s[2:3], s33, v0
                                        ; implicit-def: $vgpr122_vgpr123
	s_mov_b64 s[0:1], exec
	v_writelane_b32 v254, s2, 48
	v_writelane_b32 v254, s3, 49
	s_and_b64 s[2:3], s[0:1], s[2:3]
	s_mov_b64 exec, s[2:3]
	s_cbranch_execz .LBB4_369
; %bb.368:
	v_add_co_u32_e32 v6, vcc, 0x5a000, v196
	v_addc_co_u32_e32 v7, vcc, 0, v197, vcc
	global_load_dwordx2 v[122:123], v[6:7], off
.LBB4_369:
	s_or_b64 exec, exec, s[0:1]
	v_or_b32_e32 v0, 0xb500, v248
	v_cmp_gt_u32_e64 s[2:3], s33, v0
                                        ; implicit-def: $vgpr124_vgpr125
	s_mov_b64 s[0:1], exec
	v_writelane_b32 v254, s2, 50
	v_writelane_b32 v254, s3, 51
	s_and_b64 s[2:3], s[0:1], s[2:3]
	s_mov_b64 exec, s[2:3]
	s_cbranch_execz .LBB4_371
; %bb.370:
	v_add_co_u32_e32 v6, vcc, 0x5a000, v196
	v_addc_co_u32_e32 v7, vcc, 0, v197, vcc
	global_load_dwordx2 v[124:125], v[6:7], off offset:2048
.LBB4_371:
	s_or_b64 exec, exec, s[0:1]
	v_or_b32_e32 v0, 0xb600, v248
	v_cmp_gt_u32_e64 s[2:3], s33, v0
                                        ; implicit-def: $vgpr126_vgpr127
	s_mov_b64 s[0:1], exec
	v_writelane_b32 v254, s2, 52
	v_writelane_b32 v254, s3, 53
	s_and_b64 s[2:3], s[0:1], s[2:3]
	s_mov_b64 exec, s[2:3]
	s_cbranch_execz .LBB4_373
; %bb.372:
	v_add_co_u32_e32 v6, vcc, 0x5b000, v196
	v_addc_co_u32_e32 v7, vcc, 0, v197, vcc
	global_load_dwordx2 v[126:127], v[6:7], off
.LBB4_373:
	s_or_b64 exec, exec, s[0:1]
	v_or_b32_e32 v0, 0xb700, v248
	v_cmp_gt_u32_e64 s[2:3], s33, v0
                                        ; implicit-def: $vgpr128_vgpr129
	s_mov_b64 s[0:1], exec
	v_writelane_b32 v254, s2, 54
	v_writelane_b32 v254, s3, 55
	s_and_b64 s[2:3], s[0:1], s[2:3]
	s_mov_b64 exec, s[2:3]
	s_cbranch_execz .LBB4_375
; %bb.374:
	v_add_co_u32_e32 v6, vcc, 0x5b000, v196
	v_addc_co_u32_e32 v7, vcc, 0, v197, vcc
	global_load_dwordx2 v[128:129], v[6:7], off offset:2048
.LBB4_375:
	s_or_b64 exec, exec, s[0:1]
	v_or_b32_e32 v0, 0xb800, v248
	v_cmp_gt_u32_e64 s[2:3], s33, v0
                                        ; implicit-def: $vgpr130_vgpr131
	s_mov_b64 s[0:1], exec
	v_writelane_b32 v254, s2, 56
	v_writelane_b32 v254, s3, 57
	s_and_b64 s[2:3], s[0:1], s[2:3]
	s_mov_b64 exec, s[2:3]
	s_cbranch_execz .LBB4_377
; %bb.376:
	v_add_co_u32_e32 v6, vcc, 0x5c000, v196
	v_addc_co_u32_e32 v7, vcc, 0, v197, vcc
	global_load_dwordx2 v[130:131], v[6:7], off
.LBB4_377:
	s_or_b64 exec, exec, s[0:1]
	v_or_b32_e32 v0, 0xb900, v248
	v_cmp_gt_u32_e64 s[2:3], s33, v0
                                        ; implicit-def: $vgpr132_vgpr133
	s_mov_b64 s[0:1], exec
	v_writelane_b32 v254, s2, 58
	v_writelane_b32 v254, s3, 59
	s_and_b64 s[2:3], s[0:1], s[2:3]
	s_mov_b64 exec, s[2:3]
	s_cbranch_execz .LBB4_379
; %bb.378:
	v_add_co_u32_e32 v6, vcc, 0x5c000, v196
	v_addc_co_u32_e32 v7, vcc, 0, v197, vcc
	global_load_dwordx2 v[132:133], v[6:7], off offset:2048
.LBB4_379:
	s_or_b64 exec, exec, s[0:1]
	v_or_b32_e32 v0, 0xba00, v248
	v_cmp_gt_u32_e64 s[2:3], s33, v0
                                        ; implicit-def: $vgpr134_vgpr135
	s_mov_b64 s[0:1], exec
	v_writelane_b32 v254, s2, 60
	v_writelane_b32 v254, s3, 61
	s_and_b64 s[2:3], s[0:1], s[2:3]
	s_mov_b64 exec, s[2:3]
	s_cbranch_execz .LBB4_381
; %bb.380:
	v_add_co_u32_e32 v6, vcc, 0x5d000, v196
	v_addc_co_u32_e32 v7, vcc, 0, v197, vcc
	global_load_dwordx2 v[134:135], v[6:7], off
.LBB4_381:
	s_or_b64 exec, exec, s[0:1]
	v_or_b32_e32 v0, 0xbb00, v248
	v_cmp_gt_u32_e64 s[2:3], s33, v0
                                        ; implicit-def: $vgpr136_vgpr137
	s_mov_b64 s[0:1], exec
	v_writelane_b32 v254, s2, 62
	v_writelane_b32 v254, s3, 63
	s_and_b64 s[2:3], s[0:1], s[2:3]
	s_mov_b64 exec, s[2:3]
	s_cbranch_execz .LBB4_383
; %bb.382:
	v_add_co_u32_e32 v6, vcc, 0x5d000, v196
	v_addc_co_u32_e32 v7, vcc, 0, v197, vcc
	global_load_dwordx2 v[136:137], v[6:7], off offset:2048
.LBB4_383:
	s_or_b64 exec, exec, s[0:1]
	v_or_b32_e32 v0, 0xbc00, v248
	v_cmp_gt_u32_e64 s[2:3], s33, v0
                                        ; implicit-def: $vgpr138_vgpr139
	s_mov_b64 s[0:1], exec
                                        ; implicit-def: $vgpr255 : SGPR spill to VGPR lane
	v_writelane_b32 v255, s2, 0
	v_writelane_b32 v255, s3, 1
	s_and_b64 s[2:3], s[0:1], s[2:3]
	s_mov_b64 exec, s[2:3]
	s_cbranch_execz .LBB4_385
; %bb.384:
	v_add_co_u32_e32 v6, vcc, 0x5e000, v196
	v_addc_co_u32_e32 v7, vcc, 0, v197, vcc
	global_load_dwordx2 v[138:139], v[6:7], off
.LBB4_385:
	s_or_b64 exec, exec, s[0:1]
	v_or_b32_e32 v0, 0xbd00, v248
	v_cmp_gt_u32_e64 s[2:3], s33, v0
                                        ; implicit-def: $vgpr140_vgpr141
	s_mov_b64 s[0:1], exec
	v_writelane_b32 v255, s2, 2
	v_writelane_b32 v255, s3, 3
	s_and_b64 s[2:3], s[0:1], s[2:3]
	s_mov_b64 exec, s[2:3]
	s_cbranch_execz .LBB4_387
; %bb.386:
	v_add_co_u32_e32 v6, vcc, 0x5e000, v196
	v_addc_co_u32_e32 v7, vcc, 0, v197, vcc
	global_load_dwordx2 v[140:141], v[6:7], off offset:2048
.LBB4_387:
	s_or_b64 exec, exec, s[0:1]
	v_or_b32_e32 v0, 0xbe00, v248
	v_cmp_gt_u32_e64 s[2:3], s33, v0
                                        ; implicit-def: $vgpr142_vgpr143
	s_mov_b64 s[0:1], exec
	v_writelane_b32 v255, s2, 4
	v_writelane_b32 v255, s3, 5
	s_and_b64 s[2:3], s[0:1], s[2:3]
	s_mov_b64 exec, s[2:3]
	s_cbranch_execz .LBB4_389
; %bb.388:
	v_add_co_u32_e32 v6, vcc, 0x5f000, v196
	v_addc_co_u32_e32 v7, vcc, 0, v197, vcc
	global_load_dwordx2 v[142:143], v[6:7], off
.LBB4_389:
	s_or_b64 exec, exec, s[0:1]
	v_or_b32_e32 v0, 0xbf00, v248
	v_cmp_gt_u32_e64 s[2:3], s33, v0
                                        ; implicit-def: $vgpr144_vgpr145
	s_mov_b64 s[0:1], exec
	v_writelane_b32 v255, s2, 6
	v_writelane_b32 v255, s3, 7
	s_and_b64 s[2:3], s[0:1], s[2:3]
	s_mov_b64 exec, s[2:3]
	s_cbranch_execz .LBB4_391
; %bb.390:
	v_add_co_u32_e32 v6, vcc, 0x5f000, v196
	v_addc_co_u32_e32 v7, vcc, 0, v197, vcc
	global_load_dwordx2 v[144:145], v[6:7], off offset:2048
.LBB4_391:
	s_or_b64 exec, exec, s[0:1]
	v_or_b32_e32 v0, 0xc000, v248
	v_cmp_gt_u32_e64 s[2:3], s33, v0
                                        ; implicit-def: $vgpr146_vgpr147
	s_mov_b64 s[0:1], exec
	v_writelane_b32 v255, s2, 8
	v_writelane_b32 v255, s3, 9
	s_and_b64 s[2:3], s[0:1], s[2:3]
	s_mov_b64 exec, s[2:3]
	s_cbranch_execz .LBB4_393
; %bb.392:
	v_add_co_u32_e32 v6, vcc, 0x60000, v196
	v_addc_co_u32_e32 v7, vcc, 0, v197, vcc
	global_load_dwordx2 v[146:147], v[6:7], off
.LBB4_393:
	s_or_b64 exec, exec, s[0:1]
	v_or_b32_e32 v0, 0xc100, v248
	v_cmp_gt_u32_e64 s[2:3], s33, v0
                                        ; implicit-def: $vgpr148_vgpr149
	s_mov_b64 s[0:1], exec
	v_writelane_b32 v255, s2, 10
	v_writelane_b32 v255, s3, 11
	s_and_b64 s[2:3], s[0:1], s[2:3]
	s_mov_b64 exec, s[2:3]
	s_cbranch_execz .LBB4_395
; %bb.394:
	v_add_co_u32_e32 v6, vcc, 0x60000, v196
	v_addc_co_u32_e32 v7, vcc, 0, v197, vcc
	global_load_dwordx2 v[148:149], v[6:7], off offset:2048
.LBB4_395:
	s_or_b64 exec, exec, s[0:1]
	v_or_b32_e32 v0, 0xc200, v248
	v_cmp_gt_u32_e64 s[2:3], s33, v0
                                        ; implicit-def: $vgpr150_vgpr151
	s_mov_b64 s[0:1], exec
	v_writelane_b32 v255, s2, 12
	v_writelane_b32 v255, s3, 13
	s_and_b64 s[2:3], s[0:1], s[2:3]
	s_mov_b64 exec, s[2:3]
	s_cbranch_execz .LBB4_397
; %bb.396:
	v_add_co_u32_e32 v6, vcc, 0x61000, v196
	v_addc_co_u32_e32 v7, vcc, 0, v197, vcc
	global_load_dwordx2 v[150:151], v[6:7], off
.LBB4_397:
	s_or_b64 exec, exec, s[0:1]
	v_or_b32_e32 v0, 0xc300, v248
	v_cmp_gt_u32_e64 s[2:3], s33, v0
                                        ; implicit-def: $vgpr152_vgpr153
	s_mov_b64 s[0:1], exec
	v_writelane_b32 v255, s2, 14
	v_writelane_b32 v255, s3, 15
	s_and_b64 s[2:3], s[0:1], s[2:3]
	s_mov_b64 exec, s[2:3]
	s_cbranch_execz .LBB4_399
; %bb.398:
	v_add_co_u32_e32 v6, vcc, 0x61000, v196
	v_addc_co_u32_e32 v7, vcc, 0, v197, vcc
	global_load_dwordx2 v[152:153], v[6:7], off offset:2048
.LBB4_399:
	s_or_b64 exec, exec, s[0:1]
	v_or_b32_e32 v0, 0xc400, v248
	v_cmp_gt_u32_e64 s[2:3], s33, v0
                                        ; implicit-def: $vgpr154_vgpr155
	s_mov_b64 s[0:1], exec
	v_writelane_b32 v255, s2, 16
	v_writelane_b32 v255, s3, 17
	s_and_b64 s[2:3], s[0:1], s[2:3]
	s_mov_b64 exec, s[2:3]
	s_cbranch_execz .LBB4_401
; %bb.400:
	v_add_co_u32_e32 v6, vcc, 0x62000, v196
	v_addc_co_u32_e32 v7, vcc, 0, v197, vcc
	global_load_dwordx2 v[154:155], v[6:7], off
.LBB4_401:
	s_or_b64 exec, exec, s[0:1]
	v_or_b32_e32 v0, 0xc500, v248
	v_cmp_gt_u32_e64 s[2:3], s33, v0
                                        ; implicit-def: $vgpr156_vgpr157
	s_mov_b64 s[0:1], exec
	v_writelane_b32 v255, s2, 18
	v_writelane_b32 v255, s3, 19
	s_and_b64 s[2:3], s[0:1], s[2:3]
	s_mov_b64 exec, s[2:3]
	s_cbranch_execz .LBB4_403
; %bb.402:
	v_add_co_u32_e32 v6, vcc, 0x62000, v196
	v_addc_co_u32_e32 v7, vcc, 0, v197, vcc
	global_load_dwordx2 v[156:157], v[6:7], off offset:2048
.LBB4_403:
	s_or_b64 exec, exec, s[0:1]
	v_or_b32_e32 v0, 0xc600, v248
	v_cmp_gt_u32_e64 s[2:3], s33, v0
                                        ; implicit-def: $vgpr158_vgpr159
	s_mov_b64 s[0:1], exec
	v_writelane_b32 v255, s2, 20
	v_writelane_b32 v255, s3, 21
	s_and_b64 s[2:3], s[0:1], s[2:3]
	s_mov_b64 exec, s[2:3]
	s_cbranch_execz .LBB4_405
; %bb.404:
	v_add_co_u32_e32 v6, vcc, 0x63000, v196
	v_addc_co_u32_e32 v7, vcc, 0, v197, vcc
	global_load_dwordx2 v[158:159], v[6:7], off
.LBB4_405:
	s_or_b64 exec, exec, s[0:1]
	v_or_b32_e32 v0, 0xc700, v248
	v_cmp_gt_u32_e64 s[2:3], s33, v0
                                        ; implicit-def: $vgpr160_vgpr161
	s_mov_b64 s[0:1], exec
	v_writelane_b32 v255, s2, 22
	v_writelane_b32 v255, s3, 23
	s_and_b64 s[2:3], s[0:1], s[2:3]
	s_mov_b64 exec, s[2:3]
	s_cbranch_execz .LBB4_407
; %bb.406:
	v_add_co_u32_e32 v6, vcc, 0x63000, v196
	v_addc_co_u32_e32 v7, vcc, 0, v197, vcc
	global_load_dwordx2 v[160:161], v[6:7], off offset:2048
.LBB4_407:
	s_or_b64 exec, exec, s[0:1]
	v_or_b32_e32 v0, 0xc800, v248
	v_cmp_gt_u32_e64 s[2:3], s33, v0
                                        ; implicit-def: $vgpr162_vgpr163
	s_mov_b64 s[0:1], exec
	v_writelane_b32 v255, s2, 24
	v_writelane_b32 v255, s3, 25
	s_and_b64 s[2:3], s[0:1], s[2:3]
	s_mov_b64 exec, s[2:3]
	s_cbranch_execz .LBB4_409
; %bb.408:
	v_add_co_u32_e32 v6, vcc, 0x64000, v196
	v_addc_co_u32_e32 v7, vcc, 0, v197, vcc
	global_load_dwordx2 v[162:163], v[6:7], off
.LBB4_409:
	s_or_b64 exec, exec, s[0:1]
	v_or_b32_e32 v0, 0xc900, v248
	v_cmp_gt_u32_e64 s[2:3], s33, v0
                                        ; implicit-def: $vgpr164_vgpr165
	s_mov_b64 s[0:1], exec
	v_writelane_b32 v255, s2, 26
	v_writelane_b32 v255, s3, 27
	s_and_b64 s[2:3], s[0:1], s[2:3]
	s_mov_b64 exec, s[2:3]
	s_cbranch_execz .LBB4_411
; %bb.410:
	v_add_co_u32_e32 v6, vcc, 0x64000, v196
	v_addc_co_u32_e32 v7, vcc, 0, v197, vcc
	global_load_dwordx2 v[164:165], v[6:7], off offset:2048
.LBB4_411:
	s_or_b64 exec, exec, s[0:1]
	v_or_b32_e32 v0, 0xca00, v248
	v_cmp_gt_u32_e64 s[2:3], s33, v0
                                        ; implicit-def: $vgpr166_vgpr167
	s_mov_b64 s[0:1], exec
	v_writelane_b32 v255, s2, 28
	v_writelane_b32 v255, s3, 29
	s_and_b64 s[2:3], s[0:1], s[2:3]
	s_mov_b64 exec, s[2:3]
	s_cbranch_execz .LBB4_413
; %bb.412:
	v_add_co_u32_e32 v6, vcc, 0x65000, v196
	v_addc_co_u32_e32 v7, vcc, 0, v197, vcc
	global_load_dwordx2 v[166:167], v[6:7], off
.LBB4_413:
	s_or_b64 exec, exec, s[0:1]
	v_or_b32_e32 v0, 0xcb00, v248
	v_cmp_gt_u32_e64 s[2:3], s33, v0
                                        ; implicit-def: $vgpr168_vgpr169
	s_mov_b64 s[0:1], exec
	v_writelane_b32 v255, s2, 30
	v_writelane_b32 v255, s3, 31
	s_and_b64 s[2:3], s[0:1], s[2:3]
	s_mov_b64 exec, s[2:3]
	s_cbranch_execz .LBB4_415
; %bb.414:
	v_add_co_u32_e32 v6, vcc, 0x65000, v196
	v_addc_co_u32_e32 v7, vcc, 0, v197, vcc
	global_load_dwordx2 v[168:169], v[6:7], off offset:2048
.LBB4_415:
	s_or_b64 exec, exec, s[0:1]
	v_or_b32_e32 v0, 0xcc00, v248
	v_cmp_gt_u32_e64 s[2:3], s33, v0
                                        ; implicit-def: $vgpr170_vgpr171
	s_mov_b64 s[0:1], exec
	v_writelane_b32 v255, s2, 32
	v_writelane_b32 v255, s3, 33
	s_and_b64 s[2:3], s[0:1], s[2:3]
	s_mov_b64 exec, s[2:3]
	s_cbranch_execz .LBB4_417
; %bb.416:
	v_add_co_u32_e32 v6, vcc, 0x66000, v196
	v_addc_co_u32_e32 v7, vcc, 0, v197, vcc
	global_load_dwordx2 v[170:171], v[6:7], off
.LBB4_417:
	s_or_b64 exec, exec, s[0:1]
	v_or_b32_e32 v0, 0xcd00, v248
	v_cmp_gt_u32_e64 s[2:3], s33, v0
                                        ; implicit-def: $vgpr172_vgpr173
	s_mov_b64 s[0:1], exec
	v_writelane_b32 v255, s2, 34
	v_writelane_b32 v255, s3, 35
	s_and_b64 s[2:3], s[0:1], s[2:3]
	s_mov_b64 exec, s[2:3]
	s_cbranch_execz .LBB4_419
; %bb.418:
	v_add_co_u32_e32 v6, vcc, 0x66000, v196
	v_addc_co_u32_e32 v7, vcc, 0, v197, vcc
	global_load_dwordx2 v[172:173], v[6:7], off offset:2048
.LBB4_419:
	s_or_b64 exec, exec, s[0:1]
	v_or_b32_e32 v0, 0xce00, v248
	v_cmp_gt_u32_e64 s[2:3], s33, v0
                                        ; implicit-def: $vgpr174_vgpr175
	s_mov_b64 s[0:1], exec
	v_writelane_b32 v255, s2, 36
	v_writelane_b32 v255, s3, 37
	s_and_b64 s[2:3], s[0:1], s[2:3]
	s_mov_b64 exec, s[2:3]
	s_cbranch_execz .LBB4_421
; %bb.420:
	v_add_co_u32_e32 v6, vcc, 0x67000, v196
	v_addc_co_u32_e32 v7, vcc, 0, v197, vcc
	global_load_dwordx2 v[174:175], v[6:7], off
.LBB4_421:
	s_or_b64 exec, exec, s[0:1]
	v_or_b32_e32 v0, 0xcf00, v248
	v_cmp_gt_u32_e64 s[2:3], s33, v0
                                        ; implicit-def: $vgpr176_vgpr177
	s_mov_b64 s[0:1], exec
	v_writelane_b32 v255, s2, 38
	v_writelane_b32 v255, s3, 39
	s_and_b64 s[2:3], s[0:1], s[2:3]
	s_mov_b64 exec, s[2:3]
	s_cbranch_execz .LBB4_423
; %bb.422:
	v_add_co_u32_e32 v6, vcc, 0x67000, v196
	v_addc_co_u32_e32 v7, vcc, 0, v197, vcc
	global_load_dwordx2 v[176:177], v[6:7], off offset:2048
.LBB4_423:
	s_or_b64 exec, exec, s[0:1]
	v_or_b32_e32 v0, 0xd000, v248
	v_cmp_gt_u32_e64 s[2:3], s33, v0
                                        ; implicit-def: $vgpr178_vgpr179
	s_mov_b64 s[0:1], exec
	v_writelane_b32 v255, s2, 40
	v_writelane_b32 v255, s3, 41
	s_and_b64 s[2:3], s[0:1], s[2:3]
	s_mov_b64 exec, s[2:3]
	s_cbranch_execz .LBB4_425
; %bb.424:
	v_add_co_u32_e32 v6, vcc, 0x68000, v196
	v_addc_co_u32_e32 v7, vcc, 0, v197, vcc
	global_load_dwordx2 v[178:179], v[6:7], off
.LBB4_425:
	s_or_b64 exec, exec, s[0:1]
	v_or_b32_e32 v0, 0xd100, v248
	v_cmp_gt_u32_e64 s[2:3], s33, v0
                                        ; implicit-def: $vgpr180_vgpr181
	s_mov_b64 s[0:1], exec
	v_writelane_b32 v255, s2, 42
	v_writelane_b32 v255, s3, 43
	s_and_b64 s[2:3], s[0:1], s[2:3]
	s_mov_b64 exec, s[2:3]
	s_cbranch_execz .LBB4_427
; %bb.426:
	v_add_co_u32_e32 v6, vcc, 0x68000, v196
	v_addc_co_u32_e32 v7, vcc, 0, v197, vcc
	global_load_dwordx2 v[180:181], v[6:7], off offset:2048
.LBB4_427:
	s_or_b64 exec, exec, s[0:1]
	v_or_b32_e32 v0, 0xd200, v248
	v_cmp_gt_u32_e64 s[52:53], s33, v0
                                        ; implicit-def: $vgpr182_vgpr183
	s_and_saveexec_b64 s[0:1], s[52:53]
	s_cbranch_execz .LBB4_429
; %bb.428:
	v_add_co_u32_e32 v6, vcc, 0x69000, v196
	v_addc_co_u32_e32 v7, vcc, 0, v197, vcc
	global_load_dwordx2 v[182:183], v[6:7], off
.LBB4_429:
	s_or_b64 exec, exec, s[0:1]
	v_or_b32_e32 v0, 0xd300, v248
	v_cmp_gt_u32_e64 s[54:55], s33, v0
                                        ; implicit-def: $vgpr184_vgpr185
	s_and_saveexec_b64 s[0:1], s[54:55]
	s_cbranch_execz .LBB4_431
; %bb.430:
	v_add_co_u32_e32 v6, vcc, 0x69000, v196
	v_addc_co_u32_e32 v7, vcc, 0, v197, vcc
	global_load_dwordx2 v[184:185], v[6:7], off offset:2048
.LBB4_431:
	s_or_b64 exec, exec, s[0:1]
	v_or_b32_e32 v0, 0xd400, v248
	v_cmp_gt_u32_e64 s[56:57], s33, v0
                                        ; implicit-def: $vgpr186_vgpr187
	s_and_saveexec_b64 s[0:1], s[56:57]
	s_cbranch_execz .LBB4_433
; %bb.432:
	v_add_co_u32_e32 v6, vcc, 0x6a000, v196
	v_addc_co_u32_e32 v7, vcc, 0, v197, vcc
	global_load_dwordx2 v[186:187], v[6:7], off
.LBB4_433:
	s_or_b64 exec, exec, s[0:1]
	v_or_b32_e32 v0, 0xd500, v248
	v_cmp_gt_u32_e64 s[58:59], s33, v0
                                        ; implicit-def: $vgpr188_vgpr189
	s_and_saveexec_b64 s[0:1], s[58:59]
	s_cbranch_execz .LBB4_435
; %bb.434:
	v_add_co_u32_e32 v6, vcc, 0x6a000, v196
	v_addc_co_u32_e32 v7, vcc, 0, v197, vcc
	global_load_dwordx2 v[188:189], v[6:7], off offset:2048
.LBB4_435:
	s_or_b64 exec, exec, s[0:1]
	v_or_b32_e32 v0, 0xd600, v248
	v_cmp_gt_u32_e64 s[60:61], s33, v0
                                        ; implicit-def: $vgpr190_vgpr191
	s_and_saveexec_b64 s[0:1], s[60:61]
	s_cbranch_execz .LBB4_437
; %bb.436:
	v_add_co_u32_e32 v6, vcc, 0x6b000, v196
	v_addc_co_u32_e32 v7, vcc, 0, v197, vcc
	global_load_dwordx2 v[190:191], v[6:7], off
.LBB4_437:
	s_or_b64 exec, exec, s[0:1]
	v_or_b32_e32 v0, 0xd700, v248
	v_cmp_gt_u32_e64 s[62:63], s33, v0
                                        ; implicit-def: $vgpr192_vgpr193
	s_and_saveexec_b64 s[0:1], s[62:63]
	s_cbranch_execz .LBB4_439
; %bb.438:
	v_add_co_u32_e32 v6, vcc, 0x6b000, v196
	v_addc_co_u32_e32 v7, vcc, 0, v197, vcc
	global_load_dwordx2 v[192:193], v[6:7], off offset:2048
.LBB4_439:
	s_or_b64 exec, exec, s[0:1]
	v_or_b32_e32 v0, 0xd800, v248
	v_cmp_gt_u32_e64 s[64:65], s33, v0
                                        ; implicit-def: $vgpr194_vgpr195
	s_and_saveexec_b64 s[0:1], s[64:65]
	s_cbranch_execz .LBB4_441
; %bb.440:
	v_add_co_u32_e32 v6, vcc, 0x6c000, v196
	v_addc_co_u32_e32 v7, vcc, 0, v197, vcc
	global_load_dwordx2 v[194:195], v[6:7], off
.LBB4_441:
	s_or_b64 exec, exec, s[0:1]
	v_or_b32_e32 v0, 0xd900, v248
	v_cmp_gt_u32_e64 s[66:67], s33, v0
                                        ; implicit-def: $vgpr32_vgpr33
	s_and_saveexec_b64 s[0:1], s[66:67]
	s_cbranch_execz .LBB4_443
; %bb.442:
	v_add_co_u32_e32 v6, vcc, 0x6c000, v196
	v_addc_co_u32_e32 v7, vcc, 0, v197, vcc
	global_load_dwordx2 v[32:33], v[6:7], off offset:2048
.LBB4_443:
	s_or_b64 exec, exec, s[0:1]
	v_or_b32_e32 v0, 0xda00, v248
	v_cmp_gt_u32_e64 s[68:69], s33, v0
                                        ; implicit-def: $vgpr198_vgpr199
	s_and_saveexec_b64 s[0:1], s[68:69]
	s_cbranch_execz .LBB4_445
; %bb.444:
	v_add_co_u32_e32 v6, vcc, 0x6d000, v196
	v_addc_co_u32_e32 v7, vcc, 0, v197, vcc
	global_load_dwordx2 v[198:199], v[6:7], off
.LBB4_445:
	s_or_b64 exec, exec, s[0:1]
	v_or_b32_e32 v0, 0xdb00, v248
	v_cmp_gt_u32_e64 s[70:71], s33, v0
                                        ; implicit-def: $vgpr200_vgpr201
	s_and_saveexec_b64 s[0:1], s[70:71]
	s_cbranch_execz .LBB4_447
; %bb.446:
	v_add_co_u32_e32 v6, vcc, 0x6d000, v196
	v_addc_co_u32_e32 v7, vcc, 0, v197, vcc
	global_load_dwordx2 v[200:201], v[6:7], off offset:2048
.LBB4_447:
	s_or_b64 exec, exec, s[0:1]
	v_or_b32_e32 v0, 0xdc00, v248
	v_cmp_gt_u32_e64 s[72:73], s33, v0
                                        ; implicit-def: $vgpr202_vgpr203
	s_and_saveexec_b64 s[0:1], s[72:73]
	s_cbranch_execz .LBB4_449
; %bb.448:
	v_add_co_u32_e32 v6, vcc, 0x6e000, v196
	v_addc_co_u32_e32 v7, vcc, 0, v197, vcc
	global_load_dwordx2 v[202:203], v[6:7], off
.LBB4_449:
	s_or_b64 exec, exec, s[0:1]
	v_or_b32_e32 v0, 0xdd00, v248
	v_cmp_gt_u32_e64 s[74:75], s33, v0
                                        ; implicit-def: $vgpr204_vgpr205
	s_and_saveexec_b64 s[0:1], s[74:75]
	s_cbranch_execz .LBB4_451
; %bb.450:
	v_add_co_u32_e32 v6, vcc, 0x6e000, v196
	v_addc_co_u32_e32 v7, vcc, 0, v197, vcc
	global_load_dwordx2 v[204:205], v[6:7], off offset:2048
.LBB4_451:
	s_or_b64 exec, exec, s[0:1]
	v_or_b32_e32 v0, 0xde00, v248
	v_cmp_gt_u32_e64 s[76:77], s33, v0
                                        ; implicit-def: $vgpr206_vgpr207
	s_and_saveexec_b64 s[0:1], s[76:77]
	s_cbranch_execz .LBB4_453
; %bb.452:
	v_add_co_u32_e32 v6, vcc, 0x6f000, v196
	v_addc_co_u32_e32 v7, vcc, 0, v197, vcc
	global_load_dwordx2 v[206:207], v[6:7], off
.LBB4_453:
	s_or_b64 exec, exec, s[0:1]
	v_or_b32_e32 v0, 0xdf00, v248
	v_cmp_gt_u32_e64 s[78:79], s33, v0
                                        ; implicit-def: $vgpr208_vgpr209
	s_and_saveexec_b64 s[0:1], s[78:79]
	s_cbranch_execz .LBB4_455
; %bb.454:
	v_add_co_u32_e32 v6, vcc, 0x6f000, v196
	v_addc_co_u32_e32 v7, vcc, 0, v197, vcc
	global_load_dwordx2 v[208:209], v[6:7], off offset:2048
.LBB4_455:
	s_or_b64 exec, exec, s[0:1]
	v_or_b32_e32 v0, 0xe000, v248
	v_cmp_gt_u32_e64 s[80:81], s33, v0
                                        ; implicit-def: $vgpr210_vgpr211
	s_and_saveexec_b64 s[0:1], s[80:81]
	s_cbranch_execz .LBB4_457
; %bb.456:
	v_add_co_u32_e32 v6, vcc, 0x70000, v196
	v_addc_co_u32_e32 v7, vcc, 0, v197, vcc
	global_load_dwordx2 v[210:211], v[6:7], off
.LBB4_457:
	s_or_b64 exec, exec, s[0:1]
	v_or_b32_e32 v0, 0xe100, v248
	v_cmp_gt_u32_e64 s[82:83], s33, v0
                                        ; implicit-def: $vgpr212_vgpr213
	s_and_saveexec_b64 s[0:1], s[82:83]
	s_cbranch_execz .LBB4_459
; %bb.458:
	v_add_co_u32_e32 v6, vcc, 0x70000, v196
	v_addc_co_u32_e32 v7, vcc, 0, v197, vcc
	global_load_dwordx2 v[212:213], v[6:7], off offset:2048
.LBB4_459:
	s_or_b64 exec, exec, s[0:1]
	v_or_b32_e32 v0, 0xe200, v248
	v_cmp_gt_u32_e64 s[84:85], s33, v0
                                        ; implicit-def: $vgpr214_vgpr215
	s_and_saveexec_b64 s[0:1], s[84:85]
	s_cbranch_execz .LBB4_461
; %bb.460:
	v_add_co_u32_e32 v6, vcc, 0x71000, v196
	v_addc_co_u32_e32 v7, vcc, 0, v197, vcc
	global_load_dwordx2 v[214:215], v[6:7], off
.LBB4_461:
	s_or_b64 exec, exec, s[0:1]
	v_or_b32_e32 v0, 0xe300, v248
	v_cmp_gt_u32_e64 s[86:87], s33, v0
                                        ; implicit-def: $vgpr216_vgpr217
	s_and_saveexec_b64 s[0:1], s[86:87]
	s_cbranch_execz .LBB4_463
; %bb.462:
	v_add_co_u32_e32 v6, vcc, 0x71000, v196
	v_addc_co_u32_e32 v7, vcc, 0, v197, vcc
	global_load_dwordx2 v[216:217], v[6:7], off offset:2048
.LBB4_463:
	s_or_b64 exec, exec, s[0:1]
	v_or_b32_e32 v0, 0xe400, v248
	v_cmp_gt_u32_e64 s[88:89], s33, v0
                                        ; implicit-def: $vgpr218_vgpr219
	s_and_saveexec_b64 s[0:1], s[88:89]
	s_cbranch_execz .LBB4_465
; %bb.464:
	v_add_co_u32_e32 v6, vcc, 0x72000, v196
	v_addc_co_u32_e32 v7, vcc, 0, v197, vcc
	global_load_dwordx2 v[218:219], v[6:7], off
.LBB4_465:
	s_or_b64 exec, exec, s[0:1]
	v_or_b32_e32 v0, 0xe500, v248
	v_cmp_gt_u32_e64 s[90:91], s33, v0
                                        ; implicit-def: $vgpr220_vgpr221
	s_and_saveexec_b64 s[0:1], s[90:91]
	s_cbranch_execz .LBB4_467
; %bb.466:
	v_add_co_u32_e32 v6, vcc, 0x72000, v196
	v_addc_co_u32_e32 v7, vcc, 0, v197, vcc
	global_load_dwordx2 v[220:221], v[6:7], off offset:2048
.LBB4_467:
	s_or_b64 exec, exec, s[0:1]
	v_or_b32_e32 v0, 0xe600, v248
	v_cmp_gt_u32_e64 s[92:93], s33, v0
                                        ; implicit-def: $vgpr222_vgpr223
	s_and_saveexec_b64 s[0:1], s[92:93]
	s_cbranch_execz .LBB4_469
; %bb.468:
	v_add_co_u32_e32 v6, vcc, 0x73000, v196
	v_addc_co_u32_e32 v7, vcc, 0, v197, vcc
	global_load_dwordx2 v[222:223], v[6:7], off
.LBB4_469:
	s_or_b64 exec, exec, s[0:1]
	v_or_b32_e32 v0, 0xe700, v248
	v_cmp_gt_u32_e64 s[94:95], s33, v0
                                        ; implicit-def: $vgpr224_vgpr225
	s_and_saveexec_b64 s[0:1], s[94:95]
	s_cbranch_execz .LBB4_471
; %bb.470:
	v_add_co_u32_e32 v6, vcc, 0x73000, v196
	v_addc_co_u32_e32 v7, vcc, 0, v197, vcc
	global_load_dwordx2 v[224:225], v[6:7], off offset:2048
.LBB4_471:
	s_or_b64 exec, exec, s[0:1]
	v_or_b32_e32 v0, 0xe800, v248
	v_cmp_gt_u32_e64 s[0:1], s33, v0
                                        ; implicit-def: $vgpr226_vgpr227
	s_and_saveexec_b64 s[2:3], s[0:1]
	s_cbranch_execz .LBB4_473
; %bb.472:
	v_add_co_u32_e32 v6, vcc, 0x74000, v196
	v_addc_co_u32_e32 v7, vcc, 0, v197, vcc
	global_load_dwordx2 v[226:227], v[6:7], off
.LBB4_473:
	s_or_b64 exec, exec, s[2:3]
	v_or_b32_e32 v0, 0xe900, v248
	v_cmp_gt_u32_e64 s[2:3], s33, v0
                                        ; implicit-def: $vgpr228_vgpr229
	s_and_saveexec_b64 s[4:5], s[2:3]
	s_cbranch_execz .LBB4_475
; %bb.474:
	v_add_co_u32_e32 v6, vcc, 0x74000, v196
	v_addc_co_u32_e32 v7, vcc, 0, v197, vcc
	global_load_dwordx2 v[228:229], v[6:7], off offset:2048
.LBB4_475:
	s_or_b64 exec, exec, s[4:5]
	v_or_b32_e32 v0, 0xea00, v248
	v_cmp_gt_u32_e64 s[4:5], s33, v0
                                        ; implicit-def: $vgpr230_vgpr231
	s_and_saveexec_b64 s[6:7], s[4:5]
	s_cbranch_execz .LBB4_477
; %bb.476:
	v_add_co_u32_e32 v6, vcc, 0x75000, v196
	v_addc_co_u32_e32 v7, vcc, 0, v197, vcc
	global_load_dwordx2 v[230:231], v[6:7], off
.LBB4_477:
	s_or_b64 exec, exec, s[6:7]
	v_or_b32_e32 v0, 0xeb00, v248
	v_cmp_gt_u32_e64 s[8:9], s33, v0
                                        ; implicit-def: $vgpr232_vgpr233
	s_and_saveexec_b64 s[6:7], s[8:9]
	s_cbranch_execz .LBB4_479
; %bb.478:
	v_add_co_u32_e32 v6, vcc, 0x75000, v196
	v_addc_co_u32_e32 v7, vcc, 0, v197, vcc
	global_load_dwordx2 v[232:233], v[6:7], off offset:2048
.LBB4_479:
	s_or_b64 exec, exec, s[6:7]
	v_or_b32_e32 v0, 0xec00, v248
	v_cmp_gt_u32_e64 s[10:11], s33, v0
                                        ; implicit-def: $vgpr234_vgpr235
	s_and_saveexec_b64 s[6:7], s[10:11]
	s_cbranch_execz .LBB4_481
; %bb.480:
	v_add_co_u32_e32 v6, vcc, 0x76000, v196
	v_addc_co_u32_e32 v7, vcc, 0, v197, vcc
	global_load_dwordx2 v[234:235], v[6:7], off
.LBB4_481:
	s_or_b64 exec, exec, s[6:7]
	v_or_b32_e32 v0, 0xed00, v248
	v_cmp_gt_u32_e64 s[6:7], s33, v0
                                        ; implicit-def: $vgpr236_vgpr237
	s_and_saveexec_b64 s[12:13], s[6:7]
	s_cbranch_execz .LBB4_483
; %bb.482:
	v_add_co_u32_e32 v6, vcc, 0x76000, v196
	v_addc_co_u32_e32 v7, vcc, 0, v197, vcc
	global_load_dwordx2 v[236:237], v[6:7], off offset:2048
.LBB4_483:
	s_or_b64 exec, exec, s[12:13]
	v_or_b32_e32 v0, 0xee00, v248
	v_cmp_gt_u32_e64 s[12:13], s33, v0
                                        ; implicit-def: $vgpr238_vgpr239
	s_and_saveexec_b64 s[14:15], s[12:13]
	s_cbranch_execz .LBB4_485
; %bb.484:
	v_add_co_u32_e32 v6, vcc, 0x77000, v196
	v_addc_co_u32_e32 v7, vcc, 0, v197, vcc
	global_load_dwordx2 v[238:239], v[6:7], off
.LBB4_485:
	s_or_b64 exec, exec, s[14:15]
	v_or_b32_e32 v0, 0xef00, v248
	v_cmp_gt_u32_e64 s[14:15], s33, v0
                                        ; implicit-def: $vgpr240_vgpr241
	s_and_saveexec_b64 s[16:17], s[14:15]
	s_cbranch_execz .LBB4_487
; %bb.486:
	v_add_co_u32_e32 v6, vcc, 0x77000, v196
	v_addc_co_u32_e32 v7, vcc, 0, v197, vcc
	global_load_dwordx2 v[240:241], v[6:7], off offset:2048
.LBB4_487:
	s_or_b64 exec, exec, s[16:17]
	v_or_b32_e32 v0, 0xf000, v248
	v_cmp_gt_u32_e64 s[16:17], s33, v0
                                        ; implicit-def: $vgpr242_vgpr243
	s_and_saveexec_b64 s[18:19], s[16:17]
	s_cbranch_execz .LBB4_489
; %bb.488:
	v_add_co_u32_e32 v6, vcc, 0x78000, v196
	v_addc_co_u32_e32 v7, vcc, 0, v197, vcc
	global_load_dwordx2 v[242:243], v[6:7], off
.LBB4_489:
	s_or_b64 exec, exec, s[18:19]
	v_or_b32_e32 v0, 0xf100, v248
	v_cmp_gt_u32_e64 s[18:19], s33, v0
                                        ; implicit-def: $vgpr244_vgpr245
	s_and_saveexec_b64 s[20:21], s[18:19]
	s_cbranch_execz .LBB4_491
; %bb.490:
	v_add_co_u32_e32 v6, vcc, 0x78000, v196
	v_addc_co_u32_e32 v7, vcc, 0, v197, vcc
	global_load_dwordx2 v[244:245], v[6:7], off offset:2048
.LBB4_491:
	s_or_b64 exec, exec, s[20:21]
	v_or_b32_e32 v0, 0xf200, v248
	v_cmp_gt_u32_e64 s[20:21], s33, v0
                                        ; implicit-def: $vgpr246_vgpr247
	s_and_saveexec_b64 s[22:23], s[20:21]
	s_cbranch_execz .LBB4_493
; %bb.492:
	v_add_co_u32_e32 v6, vcc, 0x79000, v196
	v_addc_co_u32_e32 v7, vcc, 0, v197, vcc
	global_load_dwordx2 v[246:247], v[6:7], off
.LBB4_493:
	s_or_b64 exec, exec, s[22:23]
	v_or_b32_e32 v0, 0xf300, v248
	v_cmp_gt_u32_e64 s[22:23], s33, v0
                                        ; implicit-def: $vgpr6_vgpr7
	s_and_saveexec_b64 s[24:25], s[22:23]
	s_cbranch_execz .LBB4_495
; %bb.494:
	v_add_co_u32_e32 v6, vcc, 0x79000, v196
	v_addc_co_u32_e32 v7, vcc, 0, v197, vcc
	global_load_dwordx2 v[6:7], v[6:7], off offset:2048
.LBB4_495:
	s_or_b64 exec, exec, s[24:25]
	v_or_b32_e32 v0, 0xf400, v248
	v_cmp_gt_u32_e64 s[24:25], s33, v0
                                        ; implicit-def: $vgpr8_vgpr9
	s_and_saveexec_b64 s[26:27], s[24:25]
	s_cbranch_execz .LBB4_497
; %bb.496:
	v_add_co_u32_e32 v8, vcc, 0x7a000, v196
	v_addc_co_u32_e32 v9, vcc, 0, v197, vcc
	global_load_dwordx2 v[8:9], v[8:9], off
.LBB4_497:
	s_or_b64 exec, exec, s[26:27]
	v_or_b32_e32 v0, 0xf500, v248
	v_cmp_gt_u32_e64 s[26:27], s33, v0
                                        ; implicit-def: $vgpr10_vgpr11
	s_and_saveexec_b64 s[28:29], s[26:27]
	s_cbranch_execz .LBB4_499
; %bb.498:
	v_add_co_u32_e32 v10, vcc, 0x7a000, v196
	v_addc_co_u32_e32 v11, vcc, 0, v197, vcc
	global_load_dwordx2 v[10:11], v[10:11], off offset:2048
.LBB4_499:
	s_or_b64 exec, exec, s[28:29]
	v_or_b32_e32 v0, 0xf600, v248
	v_cmp_gt_u32_e64 s[28:29], s33, v0
                                        ; implicit-def: $vgpr12_vgpr13
	s_and_saveexec_b64 s[30:31], s[28:29]
	s_cbranch_execz .LBB4_501
; %bb.500:
	v_add_co_u32_e32 v12, vcc, 0x7b000, v196
	v_addc_co_u32_e32 v13, vcc, 0, v197, vcc
	global_load_dwordx2 v[12:13], v[12:13], off
.LBB4_501:
	s_or_b64 exec, exec, s[30:31]
	v_or_b32_e32 v0, 0xf700, v248
	v_cmp_gt_u32_e64 s[30:31], s33, v0
                                        ; implicit-def: $vgpr14_vgpr15
	s_and_saveexec_b64 s[34:35], s[30:31]
	s_cbranch_execz .LBB4_503
; %bb.502:
	v_add_co_u32_e32 v14, vcc, 0x7b000, v196
	v_addc_co_u32_e32 v15, vcc, 0, v197, vcc
	global_load_dwordx2 v[14:15], v[14:15], off offset:2048
.LBB4_503:
	s_or_b64 exec, exec, s[34:35]
	v_or_b32_e32 v0, 0xf800, v248
	v_cmp_gt_u32_e64 s[34:35], s33, v0
                                        ; implicit-def: $vgpr16_vgpr17
	s_and_saveexec_b64 s[36:37], s[34:35]
	s_cbranch_execz .LBB4_505
; %bb.504:
	v_add_co_u32_e32 v16, vcc, 0x7c000, v196
	v_addc_co_u32_e32 v17, vcc, 0, v197, vcc
	global_load_dwordx2 v[16:17], v[16:17], off
.LBB4_505:
	s_or_b64 exec, exec, s[36:37]
	v_or_b32_e32 v0, 0xf900, v248
	v_cmp_gt_u32_e64 s[36:37], s33, v0
                                        ; implicit-def: $vgpr18_vgpr19
	s_and_saveexec_b64 s[38:39], s[36:37]
	s_cbranch_execz .LBB4_507
; %bb.506:
	v_add_co_u32_e32 v18, vcc, 0x7c000, v196
	v_addc_co_u32_e32 v19, vcc, 0, v197, vcc
	global_load_dwordx2 v[18:19], v[18:19], off offset:2048
.LBB4_507:
	s_or_b64 exec, exec, s[38:39]
	v_or_b32_e32 v0, 0xfa00, v248
	v_cmp_gt_u32_e64 s[38:39], s33, v0
                                        ; implicit-def: $vgpr20_vgpr21
	s_and_saveexec_b64 s[40:41], s[38:39]
	s_cbranch_execz .LBB4_509
; %bb.508:
	v_add_co_u32_e32 v20, vcc, 0x7d000, v196
	v_addc_co_u32_e32 v21, vcc, 0, v197, vcc
	global_load_dwordx2 v[20:21], v[20:21], off
.LBB4_509:
	s_or_b64 exec, exec, s[40:41]
	v_or_b32_e32 v0, 0xfb00, v248
	v_cmp_gt_u32_e64 s[40:41], s33, v0
                                        ; implicit-def: $vgpr22_vgpr23
	s_and_saveexec_b64 s[42:43], s[40:41]
	s_cbranch_execz .LBB4_511
; %bb.510:
	v_add_co_u32_e32 v22, vcc, 0x7d000, v196
	v_addc_co_u32_e32 v23, vcc, 0, v197, vcc
	global_load_dwordx2 v[22:23], v[22:23], off offset:2048
.LBB4_511:
	s_or_b64 exec, exec, s[42:43]
	v_or_b32_e32 v0, 0xfc00, v248
	v_cmp_gt_u32_e64 s[42:43], s33, v0
                                        ; implicit-def: $vgpr24_vgpr25
	s_and_saveexec_b64 s[44:45], s[42:43]
	s_cbranch_execz .LBB4_513
; %bb.512:
	v_add_co_u32_e32 v24, vcc, 0x7e000, v196
	v_addc_co_u32_e32 v25, vcc, 0, v197, vcc
	global_load_dwordx2 v[24:25], v[24:25], off
.LBB4_513:
	s_or_b64 exec, exec, s[44:45]
	v_or_b32_e32 v0, 0xfd00, v248
	v_cmp_gt_u32_e64 s[44:45], s33, v0
                                        ; implicit-def: $vgpr26_vgpr27
	s_and_saveexec_b64 s[46:47], s[44:45]
	s_cbranch_execz .LBB4_515
; %bb.514:
	v_add_co_u32_e32 v26, vcc, 0x7e000, v196
	v_addc_co_u32_e32 v27, vcc, 0, v197, vcc
	global_load_dwordx2 v[26:27], v[26:27], off offset:2048
.LBB4_515:
	s_or_b64 exec, exec, s[46:47]
	v_or_b32_e32 v0, 0xfe00, v248
	v_cmp_gt_u32_e64 s[46:47], s33, v0
                                        ; implicit-def: $vgpr28_vgpr29
	s_and_saveexec_b64 s[48:49], s[46:47]
	s_cbranch_execz .LBB4_517
; %bb.516:
	v_add_co_u32_e32 v28, vcc, 0x7f000, v196
	v_addc_co_u32_e32 v29, vcc, 0, v197, vcc
	global_load_dwordx2 v[28:29], v[28:29], off
.LBB4_517:
	s_or_b64 exec, exec, s[48:49]
	v_or_b32_e32 v0, 0xff00, v248
	v_cmp_gt_u32_e64 s[48:49], s33, v0
                                        ; implicit-def: $vgpr30_vgpr31
	s_and_saveexec_b64 s[50:51], s[48:49]
	s_cbranch_execz .LBB4_519
; %bb.518:
	s_waitcnt vmcnt(0)
	v_pk_mov_b32 v[0:1], v[2:3], v[2:3] op_sel:[0,1]
	v_add_co_u32_e32 v2, vcc, 0x7f000, v196
	v_addc_co_u32_e32 v3, vcc, 0, v197, vcc
	global_load_dwordx2 v[30:31], v[2:3], off offset:2048
	v_pk_mov_b32 v[2:3], v[0:1], v[0:1] op_sel:[0,1]
.LBB4_519:
	s_or_b64 exec, exec, s[50:51]
	buffer_load_dword v0, off, s[96:99], 0  ; 4-byte Folded Reload
	buffer_load_dword v1, off, s[96:99], 0 offset:4 ; 4-byte Folded Reload
	v_readlane_b32 s50, v249, 10
	s_waitcnt vmcnt(2)
	v_add_f64 v[2:3], v[4:5], v[2:3]
	v_readlane_b32 s51, v249, 11
	v_cndmask_b32_e64 v3, v5, v3, s[50:51]
	v_cndmask_b32_e64 v2, v4, v2, s[50:51]
	v_readlane_b32 s50, v249, 12
	v_readlane_b32 s51, v249, 13
	s_waitcnt vmcnt(0)
	v_add_f64 v[4:5], v[2:3], v[0:1]
	buffer_load_dword v0, off, s[96:99], 0 offset:8 ; 4-byte Folded Reload
	buffer_load_dword v1, off, s[96:99], 0 offset:12 ; 4-byte Folded Reload
	v_cndmask_b32_e64 v3, v3, v5, s[50:51]
	v_cndmask_b32_e64 v2, v2, v4, s[50:51]
	v_readlane_b32 s50, v249, 14
	v_readlane_b32 s51, v249, 15
	s_waitcnt vmcnt(0)
	v_add_f64 v[4:5], v[2:3], v[0:1]
	buffer_load_dword v0, off, s[96:99], 0 offset:16 ; 4-byte Folded Reload
	buffer_load_dword v1, off, s[96:99], 0 offset:20 ; 4-byte Folded Reload
	;; [unrolled: 8-line block ×5, first 2 shown]
	v_cndmask_b32_e64 v3, v3, v5, s[50:51]
	v_cndmask_b32_e64 v2, v2, v4, s[50:51]
	v_readlane_b32 s50, v249, 22
	v_readlane_b32 s51, v249, 23
	s_waitcnt vmcnt(0)
	v_add_f64 v[4:5], v[2:3], v[0:1]
	v_accvgpr_read_b32 v0, a12
	v_cndmask_b32_e64 v3, v3, v5, s[50:51]
	v_cndmask_b32_e64 v2, v2, v4, s[50:51]
	v_accvgpr_read_b32 v1, a13
	v_readlane_b32 s50, v249, 24
	v_add_f64 v[4:5], v[2:3], v[0:1]
	v_readlane_b32 s51, v249, 25
	v_accvgpr_read_b32 v0, a14
	v_cndmask_b32_e64 v3, v3, v5, s[50:51]
	v_cndmask_b32_e64 v2, v2, v4, s[50:51]
	v_accvgpr_read_b32 v1, a15
	v_readlane_b32 s50, v249, 26
	v_add_f64 v[4:5], v[2:3], v[0:1]
	v_readlane_b32 s51, v249, 27
	;; [unrolled: 7-line block ×128, first 2 shown]
	v_cndmask_b32_e64 v3, v3, v5, s[50:51]
	v_cndmask_b32_e64 v2, v2, v4, s[50:51]
	v_readlane_b32 s50, v253, 24
	v_add_f64 v[4:5], v[2:3], v[34:35]
	v_readlane_b32 s51, v253, 25
	v_cndmask_b32_e64 v3, v3, v5, s[50:51]
	v_cndmask_b32_e64 v2, v2, v4, s[50:51]
	v_readlane_b32 s50, v253, 26
	v_add_f64 v[4:5], v[2:3], v[36:37]
	v_readlane_b32 s51, v253, 27
	;; [unrolled: 5-line block ×74, first 2 shown]
	v_cndmask_b32_e64 v3, v3, v5, s[50:51]
	v_cndmask_b32_e64 v2, v2, v4, s[50:51]
	v_add_f64 v[4:5], v[2:3], v[182:183]
	v_cndmask_b32_e64 v3, v3, v5, s[52:53]
	v_cndmask_b32_e64 v2, v2, v4, s[52:53]
	v_add_f64 v[4:5], v[2:3], v[184:185]
	;; [unrolled: 3-line block ×44, first 2 shown]
	v_cndmask_b32_e64 v3, v3, v5, s[44:45]
	v_cndmask_b32_e64 v2, v2, v4, s[44:45]
	v_mbcnt_lo_u32_b32 v0, -1, 0
	v_add_f64 v[4:5], v[2:3], v[28:29]
	v_mbcnt_hi_u32_b32 v1, -1, v0
	v_cndmask_b32_e64 v3, v3, v5, s[46:47]
	v_cndmask_b32_e64 v2, v2, v4, s[46:47]
	v_and_b32_e32 v0, 63, v1
	v_add_f64 v[4:5], v[2:3], v[30:31]
	v_cmp_ne_u32_e32 vcc, 63, v0
	v_cndmask_b32_e64 v2, v2, v4, s[48:49]
	v_addc_co_u32_e32 v4, vcc, 0, v1, vcc
	v_cndmask_b32_e64 v3, v3, v5, s[48:49]
	v_lshlrev_b32_e32 v5, 2, v4
	ds_bpermute_b32 v4, v5, v2
	ds_bpermute_b32 v5, v5, v3
	s_min_u32 s4, s33, 0x100
	v_and_b32_e32 v6, 0xc0, v248
	v_sub_u32_e64 v6, s4, v6 clamp
	v_add_u32_e32 v7, 1, v1
	s_waitcnt lgkmcnt(0)
	v_add_f64 v[4:5], v[2:3], v[4:5]
	v_cmp_lt_u32_e32 vcc, v7, v6
	v_cndmask_b32_e32 v2, v2, v4, vcc
	v_cndmask_b32_e32 v3, v3, v5, vcc
	v_cmp_gt_u32_e32 vcc, 62, v0
	v_cndmask_b32_e64 v4, 0, 1, vcc
	v_lshlrev_b32_e32 v4, 1, v4
	v_add_lshl_u32 v5, v4, v1, 2
	ds_bpermute_b32 v4, v5, v2
	ds_bpermute_b32 v5, v5, v3
	v_add_u32_e32 v7, 2, v1
	v_cmp_lt_u32_e32 vcc, v7, v6
	v_add_u32_e32 v7, 4, v1
	v_cmp_gt_u32_e64 s[0:1], 32, v0
	s_waitcnt lgkmcnt(0)
	v_add_f64 v[4:5], v[2:3], v[4:5]
	v_cndmask_b32_e32 v2, v2, v4, vcc
	v_cndmask_b32_e32 v3, v3, v5, vcc
	v_cmp_gt_u32_e32 vcc, 60, v0
	v_cndmask_b32_e64 v4, 0, 1, vcc
	v_lshlrev_b32_e32 v4, 2, v4
	v_add_lshl_u32 v5, v4, v1, 2
	ds_bpermute_b32 v4, v5, v2
	ds_bpermute_b32 v5, v5, v3
	v_cmp_lt_u32_e32 vcc, v7, v6
	v_add_u32_e32 v7, 8, v1
	s_waitcnt lgkmcnt(0)
	v_add_f64 v[4:5], v[2:3], v[4:5]
	v_cndmask_b32_e32 v2, v2, v4, vcc
	v_cndmask_b32_e32 v3, v3, v5, vcc
	v_cmp_gt_u32_e32 vcc, 56, v0
	v_cndmask_b32_e64 v4, 0, 1, vcc
	v_lshlrev_b32_e32 v4, 3, v4
	v_add_lshl_u32 v5, v4, v1, 2
	ds_bpermute_b32 v4, v5, v2
	ds_bpermute_b32 v5, v5, v3
	v_cmp_lt_u32_e32 vcc, v7, v6
	v_add_u32_e32 v7, 16, v1
	s_waitcnt lgkmcnt(0)
	v_add_f64 v[4:5], v[2:3], v[4:5]
	v_cndmask_b32_e32 v2, v2, v4, vcc
	v_cndmask_b32_e32 v3, v3, v5, vcc
	v_cmp_gt_u32_e32 vcc, 48, v0
	v_cndmask_b32_e64 v4, 0, 1, vcc
	v_lshlrev_b32_e32 v4, 4, v4
	v_add_lshl_u32 v5, v4, v1, 2
	ds_bpermute_b32 v4, v5, v2
	ds_bpermute_b32 v5, v5, v3
	v_cndmask_b32_e64 v0, 0, 1, s[0:1]
	v_cmp_lt_u32_e32 vcc, v7, v6
	v_lshlrev_b32_e32 v0, 5, v0
	v_add_lshl_u32 v0, v0, v1, 2
	s_waitcnt lgkmcnt(0)
	v_add_f64 v[4:5], v[2:3], v[4:5]
	v_cndmask_b32_e32 v2, v2, v4, vcc
	v_cndmask_b32_e32 v3, v3, v5, vcc
	ds_bpermute_b32 v4, v0, v2
	ds_bpermute_b32 v5, v0, v3
	v_add_u32_e32 v0, 32, v1
	v_cmp_lt_u32_e32 vcc, v0, v6
	s_waitcnt lgkmcnt(0)
	v_add_f64 v[4:5], v[2:3], v[4:5]
	v_cndmask_b32_e32 v5, v3, v5, vcc
	v_cndmask_b32_e32 v4, v2, v4, vcc
	v_cmp_eq_u32_e32 vcc, 0, v1
	s_and_saveexec_b64 s[0:1], vcc
	s_cbranch_execz .LBB4_521
; %bb.520:
	v_lshrrev_b32_e32 v0, 3, v248
	v_and_b32_e32 v0, 24, v0
	ds_write_b64 v0, v[4:5] offset:32
.LBB4_521:
	s_or_b64 exec, exec, s[0:1]
	v_cmp_gt_u32_e32 vcc, 4, v248
	s_waitcnt lgkmcnt(0)
	s_barrier
	s_and_saveexec_b64 s[2:3], vcc
	s_cbranch_execz .LBB4_525
; %bb.522:
	v_lshlrev_b32_e32 v0, 3, v1
	ds_read_b64 v[4:5], v0 offset:32
	v_and_b32_e32 v8, 3, v1
	v_cmp_ne_u32_e32 vcc, 3, v8
	v_addc_co_u32_e32 v0, vcc, 0, v1, vcc
	v_lshlrev_b32_e32 v0, 2, v0
	s_waitcnt lgkmcnt(0)
	ds_bpermute_b32 v2, v0, v4
	ds_bpermute_b32 v3, v0, v5
	s_add_i32 s4, s4, 63
	v_cmp_gt_u32_e64 s[0:1], 2, v8
	s_lshr_b32 s4, s4, 6
	v_add_u32_e32 v0, 1, v8
	v_cndmask_b32_e64 v7, 0, 1, s[0:1]
	s_waitcnt lgkmcnt(0)
	v_add_f64 v[2:3], v[4:5], v[2:3]
	v_cmp_gt_u32_e32 vcc, s4, v0
	v_lshlrev_b32_e32 v7, 1, v7
	v_cndmask_b32_e32 v0, v5, v3, vcc
	v_cndmask_b32_e32 v6, v4, v2, vcc
	v_add_lshl_u32 v1, v7, v1, 2
	ds_bpermute_b32 v6, v1, v6
	ds_bpermute_b32 v7, v1, v0
	s_and_saveexec_b64 s[0:1], vcc
	s_cbranch_execz .LBB4_524
; %bb.523:
	v_add_u32_e32 v0, 2, v8
	s_waitcnt lgkmcnt(0)
	v_add_f64 v[4:5], v[2:3], v[6:7]
	v_cmp_gt_u32_e32 vcc, s4, v0
	v_cndmask_b32_e32 v5, v3, v5, vcc
	v_cndmask_b32_e32 v4, v2, v4, vcc
.LBB4_524:
	s_or_b64 exec, exec, s[0:1]
.LBB4_525:
	s_or_b64 exec, exec, s[2:3]
.LBB4_526:
	v_cmp_eq_u32_e32 vcc, 0, v248
	s_and_saveexec_b64 s[0:1], vcc
	s_cbranch_execnz .LBB4_528
; %bb.527:
	s_endpgm
.LBB4_528:
	v_readlane_b32 s0, v249, 8
	v_readlane_b32 s4, v249, 0
	v_readlane_b32 s1, v249, 9
	v_readlane_b32 s5, v249, 1
	v_readlane_b32 s6, v249, 2
	v_readlane_b32 s7, v249, 3
	v_readlane_b32 s8, v249, 4
	v_readlane_b32 s9, v249, 5
	s_lshl_b64 s[0:1], s[0:1], 3
	v_readlane_b32 s10, v249, 6
	v_readlane_b32 s11, v249, 7
	s_mov_b64 s[2:3], s[6:7]
	s_mov_b64 s[4:5], s[8:9]
	s_add_u32 s0, s4, s0
	s_addc_u32 s1, s5, s1
	s_mov_b64 s[6:7], s[10:11]
	s_cmp_eq_u64 s[2:3], 0
	v_add_f64 v[0:1], v[4:5], s[6:7]
	v_mov_b32_e32 v3, s7
	s_cselect_b64 vcc, -1, 0
	v_cndmask_b32_e32 v1, v1, v3, vcc
	v_mov_b32_e32 v3, s6
	v_mov_b32_e32 v2, 0
	v_cndmask_b32_e32 v0, v0, v3, vcc
	global_store_dwordx2 v2, v[0:1], s[0:1]
	s_endpgm
	.section	.rodata,"a",@progbits
	.p2align	6, 0x0
	.amdhsa_kernel _ZN7rocprim6detail19block_reduce_kernelILb1ELb1ELj16ENS0_21wrapped_reduce_configINS_14default_configEdEEdPdS5_dNS_4plusIdEEEEvT4_mT5_T6_T7_
		.amdhsa_group_segment_fixed_size 64
		.amdhsa_private_segment_fixed_size 52
		.amdhsa_kernarg_size 36
		.amdhsa_user_sgpr_count 6
		.amdhsa_user_sgpr_private_segment_buffer 1
		.amdhsa_user_sgpr_dispatch_ptr 0
		.amdhsa_user_sgpr_queue_ptr 0
		.amdhsa_user_sgpr_kernarg_segment_ptr 1
		.amdhsa_user_sgpr_dispatch_id 0
		.amdhsa_user_sgpr_flat_scratch_init 0
		.amdhsa_user_sgpr_kernarg_preload_length 0
		.amdhsa_user_sgpr_kernarg_preload_offset 0
		.amdhsa_user_sgpr_private_segment_size 0
		.amdhsa_uses_dynamic_stack 0
		.amdhsa_system_sgpr_private_segment_wavefront_offset 1
		.amdhsa_system_sgpr_workgroup_id_x 1
		.amdhsa_system_sgpr_workgroup_id_y 0
		.amdhsa_system_sgpr_workgroup_id_z 0
		.amdhsa_system_sgpr_workgroup_info 0
		.amdhsa_system_vgpr_workitem_id 0
		.amdhsa_next_free_vgpr 512
		.amdhsa_next_free_sgpr 100
		.amdhsa_accum_offset 256
		.amdhsa_reserve_vcc 1
		.amdhsa_reserve_flat_scratch 0
		.amdhsa_float_round_mode_32 0
		.amdhsa_float_round_mode_16_64 0
		.amdhsa_float_denorm_mode_32 3
		.amdhsa_float_denorm_mode_16_64 3
		.amdhsa_dx10_clamp 1
		.amdhsa_ieee_mode 1
		.amdhsa_fp16_overflow 0
		.amdhsa_tg_split 0
		.amdhsa_exception_fp_ieee_invalid_op 0
		.amdhsa_exception_fp_denorm_src 0
		.amdhsa_exception_fp_ieee_div_zero 0
		.amdhsa_exception_fp_ieee_overflow 0
		.amdhsa_exception_fp_ieee_underflow 0
		.amdhsa_exception_fp_ieee_inexact 0
		.amdhsa_exception_int_div_zero 0
	.end_amdhsa_kernel
	.section	.text._ZN7rocprim6detail19block_reduce_kernelILb1ELb1ELj16ENS0_21wrapped_reduce_configINS_14default_configEdEEdPdS5_dNS_4plusIdEEEEvT4_mT5_T6_T7_,"axG",@progbits,_ZN7rocprim6detail19block_reduce_kernelILb1ELb1ELj16ENS0_21wrapped_reduce_configINS_14default_configEdEEdPdS5_dNS_4plusIdEEEEvT4_mT5_T6_T7_,comdat
.Lfunc_end4:
	.size	_ZN7rocprim6detail19block_reduce_kernelILb1ELb1ELj16ENS0_21wrapped_reduce_configINS_14default_configEdEEdPdS5_dNS_4plusIdEEEEvT4_mT5_T6_T7_, .Lfunc_end4-_ZN7rocprim6detail19block_reduce_kernelILb1ELb1ELj16ENS0_21wrapped_reduce_configINS_14default_configEdEEdPdS5_dNS_4plusIdEEEEvT4_mT5_T6_T7_
                                        ; -- End function
	.section	.AMDGPU.csdata,"",@progbits
; Kernel info:
; codeLenInByte = 37260
; NumSgprs: 104
; NumVgprs: 256
; NumAgprs: 256
; TotalNumVgprs: 512
; ScratchSize: 52
; MemoryBound: 1
; FloatMode: 240
; IeeeMode: 1
; LDSByteSize: 64 bytes/workgroup (compile time only)
; SGPRBlocks: 12
; VGPRBlocks: 63
; NumSGPRsForWavesPerEU: 104
; NumVGPRsForWavesPerEU: 512
; AccumOffset: 256
; Occupancy: 1
; WaveLimiterHint : 1
; COMPUTE_PGM_RSRC2:SCRATCH_EN: 1
; COMPUTE_PGM_RSRC2:USER_SGPR: 6
; COMPUTE_PGM_RSRC2:TRAP_HANDLER: 0
; COMPUTE_PGM_RSRC2:TGID_X_EN: 1
; COMPUTE_PGM_RSRC2:TGID_Y_EN: 0
; COMPUTE_PGM_RSRC2:TGID_Z_EN: 0
; COMPUTE_PGM_RSRC2:TIDIG_COMP_CNT: 0
; COMPUTE_PGM_RSRC3_GFX90A:ACCUM_OFFSET: 63
; COMPUTE_PGM_RSRC3_GFX90A:TG_SPLIT: 0
	.section	.text._ZN7rocprim6detail19block_reduce_kernelILb1ELb0ELj16ENS0_21wrapped_reduce_configINS_14default_configEdEEdPdS5_dNS_4plusIdEEEEvT4_mT5_T6_T7_,"axG",@progbits,_ZN7rocprim6detail19block_reduce_kernelILb1ELb0ELj16ENS0_21wrapped_reduce_configINS_14default_configEdEEdPdS5_dNS_4plusIdEEEEvT4_mT5_T6_T7_,comdat
	.protected	_ZN7rocprim6detail19block_reduce_kernelILb1ELb0ELj16ENS0_21wrapped_reduce_configINS_14default_configEdEEdPdS5_dNS_4plusIdEEEEvT4_mT5_T6_T7_ ; -- Begin function _ZN7rocprim6detail19block_reduce_kernelILb1ELb0ELj16ENS0_21wrapped_reduce_configINS_14default_configEdEEdPdS5_dNS_4plusIdEEEEvT4_mT5_T6_T7_
	.globl	_ZN7rocprim6detail19block_reduce_kernelILb1ELb0ELj16ENS0_21wrapped_reduce_configINS_14default_configEdEEdPdS5_dNS_4plusIdEEEEvT4_mT5_T6_T7_
	.p2align	8
	.type	_ZN7rocprim6detail19block_reduce_kernelILb1ELb0ELj16ENS0_21wrapped_reduce_configINS_14default_configEdEEdPdS5_dNS_4plusIdEEEEvT4_mT5_T6_T7_,@function
_ZN7rocprim6detail19block_reduce_kernelILb1ELb0ELj16ENS0_21wrapped_reduce_configINS_14default_configEdEEdPdS5_dNS_4plusIdEEEEvT4_mT5_T6_T7_: ; @_ZN7rocprim6detail19block_reduce_kernelILb1ELb0ELj16ENS0_21wrapped_reduce_configINS_14default_configEdEEdPdS5_dNS_4plusIdEEEEvT4_mT5_T6_T7_
; %bb.0:
	s_load_dwordx8 s[8:15], s[4:5], 0x0
	s_mov_b32 s1, 0
	s_lshl_b32 s0, s6, 8
	s_mov_b32 s7, s1
	v_mbcnt_lo_u32_b32 v1, -1, 0
	s_waitcnt lgkmcnt(0)
	s_lshr_b64 s[2:3], s[10:11], 8
	s_cmp_lg_u64 s[2:3], s[6:7]
	s_cbranch_scc0 .LBB5_6
; %bb.1:
	s_lshl_b64 s[2:3], s[0:1], 3
	s_add_u32 s2, s8, s2
	s_addc_u32 s3, s9, s3
	v_lshlrev_b32_e32 v2, 3, v0
	global_load_dwordx2 v[2:3], v2, s[2:3]
	v_mbcnt_hi_u32_b32 v4, -1, v1
	v_bfrev_b32_e32 v5, 0.5
	v_lshl_or_b32 v5, v4, 2, v5
	v_cmp_eq_u32_e32 vcc, 0, v4
	s_waitcnt vmcnt(0)
	v_mov_b32_dpp v6, v2 quad_perm:[1,0,3,2] row_mask:0xf bank_mask:0xf
	v_mov_b32_dpp v7, v3 quad_perm:[1,0,3,2] row_mask:0xf bank_mask:0xf
	v_add_f64 v[2:3], v[2:3], v[6:7]
	s_nop 1
	v_mov_b32_dpp v6, v2 quad_perm:[2,3,0,1] row_mask:0xf bank_mask:0xf
	v_mov_b32_dpp v7, v3 quad_perm:[2,3,0,1] row_mask:0xf bank_mask:0xf
	v_add_f64 v[2:3], v[2:3], v[6:7]
	s_nop 1
	v_mov_b32_dpp v6, v2 row_ror:4 row_mask:0xf bank_mask:0xf
	v_mov_b32_dpp v7, v3 row_ror:4 row_mask:0xf bank_mask:0xf
	v_add_f64 v[2:3], v[2:3], v[6:7]
	s_nop 1
	v_mov_b32_dpp v6, v2 row_ror:8 row_mask:0xf bank_mask:0xf
	v_mov_b32_dpp v7, v3 row_ror:8 row_mask:0xf bank_mask:0xf
	v_add_f64 v[2:3], v[2:3], v[6:7]
	s_nop 1
	v_mov_b32_dpp v6, v2 row_bcast:15 row_mask:0xf bank_mask:0xf
	v_mov_b32_dpp v7, v3 row_bcast:15 row_mask:0xf bank_mask:0xf
	v_add_f64 v[2:3], v[2:3], v[6:7]
	s_nop 1
	v_mov_b32_dpp v6, v2 row_bcast:31 row_mask:0xf bank_mask:0xf
	v_mov_b32_dpp v7, v3 row_bcast:31 row_mask:0xf bank_mask:0xf
	v_add_f64 v[2:3], v[2:3], v[6:7]
	ds_bpermute_b32 v2, v5, v2
	ds_bpermute_b32 v3, v5, v3
	s_and_saveexec_b64 s[2:3], vcc
	s_cbranch_execz .LBB5_3
; %bb.2:
	v_lshrrev_b32_e32 v5, 3, v0
	v_and_b32_e32 v5, 24, v5
	s_waitcnt lgkmcnt(0)
	ds_write_b64 v5, v[2:3]
.LBB5_3:
	s_or_b64 exec, exec, s[2:3]
	v_cmp_gt_u32_e32 vcc, 64, v0
	s_waitcnt lgkmcnt(0)
	s_barrier
	s_and_saveexec_b64 s[2:3], vcc
	s_cbranch_execz .LBB5_5
; %bb.4:
	v_and_b32_e32 v5, 3, v4
	v_lshlrev_b32_e32 v2, 3, v5
	ds_read_b64 v[2:3], v2
	v_cmp_ne_u32_e32 vcc, 3, v5
	v_addc_co_u32_e32 v6, vcc, 0, v4, vcc
	v_lshlrev_b32_e32 v7, 2, v6
	s_waitcnt lgkmcnt(0)
	ds_bpermute_b32 v6, v7, v2
	ds_bpermute_b32 v7, v7, v3
	v_cmp_gt_u32_e32 vcc, 2, v5
	v_cndmask_b32_e64 v5, 0, 1, vcc
	v_lshlrev_b32_e32 v5, 1, v5
	v_add_lshl_u32 v5, v5, v4, 2
	s_waitcnt lgkmcnt(0)
	v_add_f64 v[2:3], v[2:3], v[6:7]
	ds_bpermute_b32 v4, v5, v2
	ds_bpermute_b32 v5, v5, v3
	s_waitcnt lgkmcnt(0)
	v_add_f64 v[2:3], v[2:3], v[4:5]
.LBB5_5:
	s_or_b64 exec, exec, s[2:3]
	s_branch .LBB5_16
.LBB5_6:
                                        ; implicit-def: $vgpr2_vgpr3
	s_cbranch_execz .LBB5_16
; %bb.7:
	s_sub_i32 s4, s10, s0
	v_cmp_gt_u32_e32 vcc, s4, v0
                                        ; implicit-def: $vgpr2_vgpr3
	s_and_saveexec_b64 s[2:3], vcc
	s_cbranch_execz .LBB5_9
; %bb.8:
	s_lshl_b64 s[0:1], s[0:1], 3
	s_add_u32 s0, s8, s0
	s_addc_u32 s1, s9, s1
	v_lshlrev_b32_e32 v2, 3, v0
	global_load_dwordx2 v[2:3], v2, s[0:1]
.LBB5_9:
	s_or_b64 exec, exec, s[2:3]
	v_mbcnt_hi_u32_b32 v1, -1, v1
	v_and_b32_e32 v6, 63, v1
	v_cmp_ne_u32_e32 vcc, 63, v6
	v_addc_co_u32_e32 v4, vcc, 0, v1, vcc
	v_lshlrev_b32_e32 v5, 2, v4
	s_waitcnt vmcnt(0)
	ds_bpermute_b32 v4, v5, v2
	ds_bpermute_b32 v5, v5, v3
	s_min_u32 s4, s4, 0x100
	v_and_b32_e32 v7, 0xc0, v0
	v_sub_u32_e64 v7, s4, v7 clamp
	v_add_u32_e32 v8, 1, v1
	s_waitcnt lgkmcnt(0)
	v_add_f64 v[4:5], v[2:3], v[4:5]
	v_cmp_lt_u32_e32 vcc, v8, v7
	v_cndmask_b32_e32 v2, v2, v4, vcc
	v_cndmask_b32_e32 v3, v3, v5, vcc
	v_cmp_gt_u32_e32 vcc, 62, v6
	v_cndmask_b32_e64 v4, 0, 1, vcc
	v_lshlrev_b32_e32 v4, 1, v4
	v_add_lshl_u32 v5, v4, v1, 2
	ds_bpermute_b32 v4, v5, v2
	ds_bpermute_b32 v5, v5, v3
	v_add_u32_e32 v8, 2, v1
	v_cmp_lt_u32_e32 vcc, v8, v7
	v_add_u32_e32 v8, 4, v1
	v_cmp_gt_u32_e64 s[0:1], 32, v6
	s_waitcnt lgkmcnt(0)
	v_add_f64 v[4:5], v[2:3], v[4:5]
	v_cndmask_b32_e32 v2, v2, v4, vcc
	v_cndmask_b32_e32 v3, v3, v5, vcc
	v_cmp_gt_u32_e32 vcc, 60, v6
	v_cndmask_b32_e64 v4, 0, 1, vcc
	v_lshlrev_b32_e32 v4, 2, v4
	v_add_lshl_u32 v5, v4, v1, 2
	ds_bpermute_b32 v4, v5, v2
	ds_bpermute_b32 v5, v5, v3
	v_cmp_lt_u32_e32 vcc, v8, v7
	v_add_u32_e32 v8, 8, v1
	s_waitcnt lgkmcnt(0)
	v_add_f64 v[4:5], v[2:3], v[4:5]
	v_cndmask_b32_e32 v2, v2, v4, vcc
	v_cndmask_b32_e32 v3, v3, v5, vcc
	v_cmp_gt_u32_e32 vcc, 56, v6
	v_cndmask_b32_e64 v4, 0, 1, vcc
	v_lshlrev_b32_e32 v4, 3, v4
	v_add_lshl_u32 v5, v4, v1, 2
	ds_bpermute_b32 v4, v5, v2
	ds_bpermute_b32 v5, v5, v3
	v_cmp_lt_u32_e32 vcc, v8, v7
	v_add_u32_e32 v8, 16, v1
	s_waitcnt lgkmcnt(0)
	v_add_f64 v[4:5], v[2:3], v[4:5]
	v_cndmask_b32_e32 v2, v2, v4, vcc
	v_cndmask_b32_e32 v3, v3, v5, vcc
	v_cmp_gt_u32_e32 vcc, 48, v6
	v_cndmask_b32_e64 v4, 0, 1, vcc
	v_lshlrev_b32_e32 v4, 4, v4
	v_add_lshl_u32 v5, v4, v1, 2
	ds_bpermute_b32 v4, v5, v2
	ds_bpermute_b32 v5, v5, v3
	v_cmp_lt_u32_e32 vcc, v8, v7
	s_waitcnt lgkmcnt(0)
	v_add_f64 v[4:5], v[2:3], v[4:5]
	v_cndmask_b32_e32 v2, v2, v4, vcc
	v_cndmask_b32_e64 v4, 0, 1, s[0:1]
	v_lshlrev_b32_e32 v4, 5, v4
	v_add_lshl_u32 v6, v4, v1, 2
	v_cndmask_b32_e32 v3, v3, v5, vcc
	ds_bpermute_b32 v4, v6, v2
	ds_bpermute_b32 v5, v6, v3
	v_add_u32_e32 v6, 32, v1
	v_cmp_lt_u32_e32 vcc, v6, v7
	s_waitcnt lgkmcnt(0)
	v_add_f64 v[4:5], v[2:3], v[4:5]
	v_cndmask_b32_e32 v3, v3, v5, vcc
	v_cndmask_b32_e32 v2, v2, v4, vcc
	v_cmp_eq_u32_e32 vcc, 0, v1
	s_and_saveexec_b64 s[0:1], vcc
	s_cbranch_execz .LBB5_11
; %bb.10:
	v_lshrrev_b32_e32 v4, 3, v0
	v_and_b32_e32 v4, 24, v4
	ds_write_b64 v4, v[2:3] offset:32
.LBB5_11:
	s_or_b64 exec, exec, s[0:1]
	v_cmp_gt_u32_e32 vcc, 4, v0
	s_waitcnt lgkmcnt(0)
	s_barrier
	s_and_saveexec_b64 s[2:3], vcc
	s_cbranch_execz .LBB5_15
; %bb.12:
	v_lshlrev_b32_e32 v2, 3, v1
	ds_read_b64 v[2:3], v2 offset:32
	v_and_b32_e32 v8, 3, v1
	v_cmp_ne_u32_e32 vcc, 3, v8
	v_addc_co_u32_e32 v4, vcc, 0, v1, vcc
	v_lshlrev_b32_e32 v5, 2, v4
	s_waitcnt lgkmcnt(0)
	ds_bpermute_b32 v4, v5, v2
	ds_bpermute_b32 v5, v5, v3
	s_add_i32 s4, s4, 63
	v_cmp_gt_u32_e64 s[0:1], 2, v8
	s_lshr_b32 s4, s4, 6
	v_add_u32_e32 v6, 1, v8
	v_cndmask_b32_e64 v9, 0, 1, s[0:1]
	s_waitcnt lgkmcnt(0)
	v_add_f64 v[4:5], v[2:3], v[4:5]
	v_cmp_gt_u32_e32 vcc, s4, v6
	v_lshlrev_b32_e32 v9, 1, v9
	v_cndmask_b32_e32 v7, v3, v5, vcc
	v_cndmask_b32_e32 v6, v2, v4, vcc
	v_add_lshl_u32 v1, v9, v1, 2
	ds_bpermute_b32 v6, v1, v6
	ds_bpermute_b32 v7, v1, v7
	s_and_saveexec_b64 s[0:1], vcc
	s_cbranch_execz .LBB5_14
; %bb.13:
	v_add_u32_e32 v1, 2, v8
	s_waitcnt lgkmcnt(0)
	v_add_f64 v[2:3], v[4:5], v[6:7]
	v_cmp_gt_u32_e32 vcc, s4, v1
	v_cndmask_b32_e32 v3, v5, v3, vcc
	v_cndmask_b32_e32 v2, v4, v2, vcc
.LBB5_14:
	s_or_b64 exec, exec, s[0:1]
.LBB5_15:
	s_or_b64 exec, exec, s[2:3]
.LBB5_16:
	v_cmp_eq_u32_e32 vcc, 0, v0
	s_and_saveexec_b64 s[0:1], vcc
	s_cbranch_execnz .LBB5_18
; %bb.17:
	s_endpgm
.LBB5_18:
	s_lshl_b64 s[0:1], s[6:7], 3
	s_add_u32 s0, s12, s0
	s_addc_u32 s1, s13, s1
	s_cmp_eq_u64 s[10:11], 0
	v_add_f64 v[0:1], v[2:3], s[14:15]
	v_mov_b32_e32 v2, s15
	s_cselect_b64 vcc, -1, 0
	v_cndmask_b32_e32 v1, v1, v2, vcc
	v_mov_b32_e32 v2, s14
	v_mov_b32_e32 v4, 0
	v_cndmask_b32_e32 v0, v0, v2, vcc
	global_store_dwordx2 v4, v[0:1], s[0:1]
	s_endpgm
	.section	.rodata,"a",@progbits
	.p2align	6, 0x0
	.amdhsa_kernel _ZN7rocprim6detail19block_reduce_kernelILb1ELb0ELj16ENS0_21wrapped_reduce_configINS_14default_configEdEEdPdS5_dNS_4plusIdEEEEvT4_mT5_T6_T7_
		.amdhsa_group_segment_fixed_size 64
		.amdhsa_private_segment_fixed_size 0
		.amdhsa_kernarg_size 36
		.amdhsa_user_sgpr_count 6
		.amdhsa_user_sgpr_private_segment_buffer 1
		.amdhsa_user_sgpr_dispatch_ptr 0
		.amdhsa_user_sgpr_queue_ptr 0
		.amdhsa_user_sgpr_kernarg_segment_ptr 1
		.amdhsa_user_sgpr_dispatch_id 0
		.amdhsa_user_sgpr_flat_scratch_init 0
		.amdhsa_user_sgpr_kernarg_preload_length 0
		.amdhsa_user_sgpr_kernarg_preload_offset 0
		.amdhsa_user_sgpr_private_segment_size 0
		.amdhsa_uses_dynamic_stack 0
		.amdhsa_system_sgpr_private_segment_wavefront_offset 0
		.amdhsa_system_sgpr_workgroup_id_x 1
		.amdhsa_system_sgpr_workgroup_id_y 0
		.amdhsa_system_sgpr_workgroup_id_z 0
		.amdhsa_system_sgpr_workgroup_info 0
		.amdhsa_system_vgpr_workitem_id 0
		.amdhsa_next_free_vgpr 10
		.amdhsa_next_free_sgpr 16
		.amdhsa_accum_offset 12
		.amdhsa_reserve_vcc 1
		.amdhsa_reserve_flat_scratch 0
		.amdhsa_float_round_mode_32 0
		.amdhsa_float_round_mode_16_64 0
		.amdhsa_float_denorm_mode_32 3
		.amdhsa_float_denorm_mode_16_64 3
		.amdhsa_dx10_clamp 1
		.amdhsa_ieee_mode 1
		.amdhsa_fp16_overflow 0
		.amdhsa_tg_split 0
		.amdhsa_exception_fp_ieee_invalid_op 0
		.amdhsa_exception_fp_denorm_src 0
		.amdhsa_exception_fp_ieee_div_zero 0
		.amdhsa_exception_fp_ieee_overflow 0
		.amdhsa_exception_fp_ieee_underflow 0
		.amdhsa_exception_fp_ieee_inexact 0
		.amdhsa_exception_int_div_zero 0
	.end_amdhsa_kernel
	.section	.text._ZN7rocprim6detail19block_reduce_kernelILb1ELb0ELj16ENS0_21wrapped_reduce_configINS_14default_configEdEEdPdS5_dNS_4plusIdEEEEvT4_mT5_T6_T7_,"axG",@progbits,_ZN7rocprim6detail19block_reduce_kernelILb1ELb0ELj16ENS0_21wrapped_reduce_configINS_14default_configEdEEdPdS5_dNS_4plusIdEEEEvT4_mT5_T6_T7_,comdat
.Lfunc_end5:
	.size	_ZN7rocprim6detail19block_reduce_kernelILb1ELb0ELj16ENS0_21wrapped_reduce_configINS_14default_configEdEEdPdS5_dNS_4plusIdEEEEvT4_mT5_T6_T7_, .Lfunc_end5-_ZN7rocprim6detail19block_reduce_kernelILb1ELb0ELj16ENS0_21wrapped_reduce_configINS_14default_configEdEEdPdS5_dNS_4plusIdEEEEvT4_mT5_T6_T7_
                                        ; -- End function
	.section	.AMDGPU.csdata,"",@progbits
; Kernel info:
; codeLenInByte = 1236
; NumSgprs: 20
; NumVgprs: 10
; NumAgprs: 0
; TotalNumVgprs: 10
; ScratchSize: 0
; MemoryBound: 0
; FloatMode: 240
; IeeeMode: 1
; LDSByteSize: 64 bytes/workgroup (compile time only)
; SGPRBlocks: 2
; VGPRBlocks: 1
; NumSGPRsForWavesPerEU: 20
; NumVGPRsForWavesPerEU: 10
; AccumOffset: 12
; Occupancy: 8
; WaveLimiterHint : 0
; COMPUTE_PGM_RSRC2:SCRATCH_EN: 0
; COMPUTE_PGM_RSRC2:USER_SGPR: 6
; COMPUTE_PGM_RSRC2:TRAP_HANDLER: 0
; COMPUTE_PGM_RSRC2:TGID_X_EN: 1
; COMPUTE_PGM_RSRC2:TGID_Y_EN: 0
; COMPUTE_PGM_RSRC2:TGID_Z_EN: 0
; COMPUTE_PGM_RSRC2:TIDIG_COMP_CNT: 0
; COMPUTE_PGM_RSRC3_GFX90A:ACCUM_OFFSET: 2
; COMPUTE_PGM_RSRC3_GFX90A:TG_SPLIT: 0
	.section	.text._ZN7rocprim6detail19block_reduce_kernelILb1ELb0ELj8ENS0_21wrapped_reduce_configINS_14default_configEdEEdPdS5_dNS_4plusIdEEEEvT4_mT5_T6_T7_,"axG",@progbits,_ZN7rocprim6detail19block_reduce_kernelILb1ELb0ELj8ENS0_21wrapped_reduce_configINS_14default_configEdEEdPdS5_dNS_4plusIdEEEEvT4_mT5_T6_T7_,comdat
	.protected	_ZN7rocprim6detail19block_reduce_kernelILb1ELb0ELj8ENS0_21wrapped_reduce_configINS_14default_configEdEEdPdS5_dNS_4plusIdEEEEvT4_mT5_T6_T7_ ; -- Begin function _ZN7rocprim6detail19block_reduce_kernelILb1ELb0ELj8ENS0_21wrapped_reduce_configINS_14default_configEdEEdPdS5_dNS_4plusIdEEEEvT4_mT5_T6_T7_
	.globl	_ZN7rocprim6detail19block_reduce_kernelILb1ELb0ELj8ENS0_21wrapped_reduce_configINS_14default_configEdEEdPdS5_dNS_4plusIdEEEEvT4_mT5_T6_T7_
	.p2align	8
	.type	_ZN7rocprim6detail19block_reduce_kernelILb1ELb0ELj8ENS0_21wrapped_reduce_configINS_14default_configEdEEdPdS5_dNS_4plusIdEEEEvT4_mT5_T6_T7_,@function
_ZN7rocprim6detail19block_reduce_kernelILb1ELb0ELj8ENS0_21wrapped_reduce_configINS_14default_configEdEEdPdS5_dNS_4plusIdEEEEvT4_mT5_T6_T7_: ; @_ZN7rocprim6detail19block_reduce_kernelILb1ELb0ELj8ENS0_21wrapped_reduce_configINS_14default_configEdEEdPdS5_dNS_4plusIdEEEEvT4_mT5_T6_T7_
; %bb.0:
	s_load_dwordx8 s[8:15], s[4:5], 0x0
	s_lshl_b32 s0, s6, 9
	s_mov_b32 s1, 0
	s_lshl_b64 s[4:5], s[0:1], 3
	s_mov_b32 s7, s1
	s_waitcnt lgkmcnt(0)
	s_lshr_b64 s[2:3], s[10:11], 9
	s_add_u32 s1, s8, s4
	s_addc_u32 s4, s9, s5
	v_lshlrev_b32_e32 v1, 3, v0
	v_mov_b32_e32 v2, s4
	v_add_co_u32_e32 v6, vcc, s1, v1
	s_cmp_lg_u64 s[2:3], s[6:7]
	v_addc_co_u32_e32 v7, vcc, 0, v2, vcc
	v_mbcnt_lo_u32_b32 v1, -1, 0
	s_cbranch_scc0 .LBB6_6
; %bb.1:
	global_load_dwordx2 v[2:3], v[6:7], off
	global_load_dwordx2 v[8:9], v[6:7], off offset:2048
	v_mbcnt_hi_u32_b32 v4, -1, v1
	v_bfrev_b32_e32 v5, 0.5
	v_lshl_or_b32 v5, v4, 2, v5
	v_cmp_eq_u32_e32 vcc, 0, v4
	s_waitcnt vmcnt(0)
	v_add_f64 v[2:3], v[2:3], v[8:9]
	s_nop 1
	v_mov_b32_dpp v8, v2 quad_perm:[1,0,3,2] row_mask:0xf bank_mask:0xf
	v_mov_b32_dpp v9, v3 quad_perm:[1,0,3,2] row_mask:0xf bank_mask:0xf
	v_add_f64 v[2:3], v[2:3], v[8:9]
	s_nop 1
	v_mov_b32_dpp v8, v2 quad_perm:[2,3,0,1] row_mask:0xf bank_mask:0xf
	v_mov_b32_dpp v9, v3 quad_perm:[2,3,0,1] row_mask:0xf bank_mask:0xf
	v_add_f64 v[2:3], v[2:3], v[8:9]
	s_nop 1
	v_mov_b32_dpp v8, v2 row_ror:4 row_mask:0xf bank_mask:0xf
	v_mov_b32_dpp v9, v3 row_ror:4 row_mask:0xf bank_mask:0xf
	v_add_f64 v[2:3], v[2:3], v[8:9]
	s_nop 1
	v_mov_b32_dpp v8, v2 row_ror:8 row_mask:0xf bank_mask:0xf
	v_mov_b32_dpp v9, v3 row_ror:8 row_mask:0xf bank_mask:0xf
	v_add_f64 v[2:3], v[2:3], v[8:9]
	s_nop 1
	v_mov_b32_dpp v8, v2 row_bcast:15 row_mask:0xf bank_mask:0xf
	v_mov_b32_dpp v9, v3 row_bcast:15 row_mask:0xf bank_mask:0xf
	v_add_f64 v[2:3], v[2:3], v[8:9]
	s_nop 1
	v_mov_b32_dpp v8, v2 row_bcast:31 row_mask:0xf bank_mask:0xf
	v_mov_b32_dpp v9, v3 row_bcast:31 row_mask:0xf bank_mask:0xf
	v_add_f64 v[2:3], v[2:3], v[8:9]
	ds_bpermute_b32 v2, v5, v2
	ds_bpermute_b32 v3, v5, v3
	s_and_saveexec_b64 s[2:3], vcc
	s_cbranch_execz .LBB6_3
; %bb.2:
	v_lshrrev_b32_e32 v5, 3, v0
	v_and_b32_e32 v5, 24, v5
	s_waitcnt lgkmcnt(0)
	ds_write_b64 v5, v[2:3]
.LBB6_3:
	s_or_b64 exec, exec, s[2:3]
	v_cmp_gt_u32_e32 vcc, 64, v0
	s_waitcnt lgkmcnt(0)
	s_barrier
	s_and_saveexec_b64 s[2:3], vcc
	s_cbranch_execz .LBB6_5
; %bb.4:
	v_and_b32_e32 v5, 3, v4
	v_lshlrev_b32_e32 v2, 3, v5
	ds_read_b64 v[2:3], v2
	v_cmp_ne_u32_e32 vcc, 3, v5
	v_addc_co_u32_e32 v8, vcc, 0, v4, vcc
	v_lshlrev_b32_e32 v9, 2, v8
	s_waitcnt lgkmcnt(0)
	ds_bpermute_b32 v8, v9, v2
	ds_bpermute_b32 v9, v9, v3
	v_cmp_gt_u32_e32 vcc, 2, v5
	v_cndmask_b32_e64 v5, 0, 1, vcc
	v_lshlrev_b32_e32 v5, 1, v5
	v_add_lshl_u32 v5, v5, v4, 2
	s_waitcnt lgkmcnt(0)
	v_add_f64 v[2:3], v[2:3], v[8:9]
	ds_bpermute_b32 v4, v5, v2
	ds_bpermute_b32 v5, v5, v3
	s_waitcnt lgkmcnt(0)
	v_add_f64 v[2:3], v[2:3], v[4:5]
.LBB6_5:
	s_or_b64 exec, exec, s[2:3]
	s_branch .LBB6_18
.LBB6_6:
                                        ; implicit-def: $vgpr2_vgpr3
	s_cbranch_execz .LBB6_18
; %bb.7:
	s_sub_i32 s2, s10, s0
	v_cmp_gt_u32_e32 vcc, s2, v0
                                        ; implicit-def: $vgpr2_vgpr3_vgpr4_vgpr5
	s_and_saveexec_b64 s[0:1], vcc
	s_cbranch_execz .LBB6_9
; %bb.8:
	global_load_dwordx2 v[2:3], v[6:7], off
.LBB6_9:
	s_or_b64 exec, exec, s[0:1]
	v_or_b32_e32 v8, 0x100, v0
	v_cmp_gt_u32_e32 vcc, s2, v8
	s_and_saveexec_b64 s[0:1], vcc
	s_cbranch_execz .LBB6_11
; %bb.10:
	global_load_dwordx2 v[4:5], v[6:7], off offset:2048
.LBB6_11:
	s_or_b64 exec, exec, s[0:1]
	v_mbcnt_hi_u32_b32 v1, -1, v1
	s_waitcnt vmcnt(0)
	v_add_f64 v[4:5], v[2:3], v[4:5]
	v_and_b32_e32 v6, 63, v1
	v_cndmask_b32_e32 v3, v3, v5, vcc
	v_cndmask_b32_e32 v2, v2, v4, vcc
	v_cmp_ne_u32_e32 vcc, 63, v6
	v_addc_co_u32_e32 v4, vcc, 0, v1, vcc
	v_lshlrev_b32_e32 v5, 2, v4
	ds_bpermute_b32 v4, v5, v2
	ds_bpermute_b32 v5, v5, v3
	s_min_u32 s4, s2, 0x100
	v_and_b32_e32 v7, 0xc0, v0
	v_sub_u32_e64 v7, s4, v7 clamp
	v_add_u32_e32 v8, 1, v1
	s_waitcnt lgkmcnt(0)
	v_add_f64 v[4:5], v[2:3], v[4:5]
	v_cmp_lt_u32_e32 vcc, v8, v7
	v_cndmask_b32_e32 v2, v2, v4, vcc
	v_cndmask_b32_e32 v3, v3, v5, vcc
	v_cmp_gt_u32_e32 vcc, 62, v6
	v_cndmask_b32_e64 v4, 0, 1, vcc
	v_lshlrev_b32_e32 v4, 1, v4
	v_add_lshl_u32 v5, v4, v1, 2
	ds_bpermute_b32 v4, v5, v2
	ds_bpermute_b32 v5, v5, v3
	v_add_u32_e32 v8, 2, v1
	v_cmp_lt_u32_e32 vcc, v8, v7
	v_add_u32_e32 v8, 4, v1
	v_cmp_gt_u32_e64 s[0:1], 32, v6
	s_waitcnt lgkmcnt(0)
	v_add_f64 v[4:5], v[2:3], v[4:5]
	v_cndmask_b32_e32 v2, v2, v4, vcc
	v_cndmask_b32_e32 v3, v3, v5, vcc
	v_cmp_gt_u32_e32 vcc, 60, v6
	v_cndmask_b32_e64 v4, 0, 1, vcc
	v_lshlrev_b32_e32 v4, 2, v4
	v_add_lshl_u32 v5, v4, v1, 2
	ds_bpermute_b32 v4, v5, v2
	ds_bpermute_b32 v5, v5, v3
	v_cmp_lt_u32_e32 vcc, v8, v7
	v_add_u32_e32 v8, 8, v1
	s_waitcnt lgkmcnt(0)
	v_add_f64 v[4:5], v[2:3], v[4:5]
	v_cndmask_b32_e32 v2, v2, v4, vcc
	v_cndmask_b32_e32 v3, v3, v5, vcc
	v_cmp_gt_u32_e32 vcc, 56, v6
	v_cndmask_b32_e64 v4, 0, 1, vcc
	v_lshlrev_b32_e32 v4, 3, v4
	v_add_lshl_u32 v5, v4, v1, 2
	ds_bpermute_b32 v4, v5, v2
	ds_bpermute_b32 v5, v5, v3
	v_cmp_lt_u32_e32 vcc, v8, v7
	v_add_u32_e32 v8, 16, v1
	s_waitcnt lgkmcnt(0)
	v_add_f64 v[4:5], v[2:3], v[4:5]
	v_cndmask_b32_e32 v2, v2, v4, vcc
	v_cndmask_b32_e32 v3, v3, v5, vcc
	v_cmp_gt_u32_e32 vcc, 48, v6
	v_cndmask_b32_e64 v4, 0, 1, vcc
	v_lshlrev_b32_e32 v4, 4, v4
	v_add_lshl_u32 v5, v4, v1, 2
	ds_bpermute_b32 v4, v5, v2
	ds_bpermute_b32 v5, v5, v3
	v_cmp_lt_u32_e32 vcc, v8, v7
	s_waitcnt lgkmcnt(0)
	v_add_f64 v[4:5], v[2:3], v[4:5]
	v_cndmask_b32_e32 v2, v2, v4, vcc
	v_cndmask_b32_e64 v4, 0, 1, s[0:1]
	v_lshlrev_b32_e32 v4, 5, v4
	v_add_lshl_u32 v6, v4, v1, 2
	v_cndmask_b32_e32 v3, v3, v5, vcc
	ds_bpermute_b32 v4, v6, v2
	ds_bpermute_b32 v5, v6, v3
	v_add_u32_e32 v6, 32, v1
	v_cmp_lt_u32_e32 vcc, v6, v7
	s_waitcnt lgkmcnt(0)
	v_add_f64 v[4:5], v[2:3], v[4:5]
	v_cndmask_b32_e32 v3, v3, v5, vcc
	v_cndmask_b32_e32 v2, v2, v4, vcc
	v_cmp_eq_u32_e32 vcc, 0, v1
	s_and_saveexec_b64 s[0:1], vcc
	s_cbranch_execz .LBB6_13
; %bb.12:
	v_lshrrev_b32_e32 v4, 3, v0
	v_and_b32_e32 v4, 24, v4
	ds_write_b64 v4, v[2:3] offset:32
.LBB6_13:
	s_or_b64 exec, exec, s[0:1]
	v_cmp_gt_u32_e32 vcc, 4, v0
	s_waitcnt lgkmcnt(0)
	s_barrier
	s_and_saveexec_b64 s[2:3], vcc
	s_cbranch_execz .LBB6_17
; %bb.14:
	v_lshlrev_b32_e32 v2, 3, v1
	ds_read_b64 v[2:3], v2 offset:32
	v_and_b32_e32 v8, 3, v1
	v_cmp_ne_u32_e32 vcc, 3, v8
	v_addc_co_u32_e32 v4, vcc, 0, v1, vcc
	v_lshlrev_b32_e32 v5, 2, v4
	s_waitcnt lgkmcnt(0)
	ds_bpermute_b32 v4, v5, v2
	ds_bpermute_b32 v5, v5, v3
	s_add_i32 s4, s4, 63
	v_cmp_gt_u32_e64 s[0:1], 2, v8
	s_lshr_b32 s4, s4, 6
	v_add_u32_e32 v6, 1, v8
	v_cndmask_b32_e64 v9, 0, 1, s[0:1]
	s_waitcnt lgkmcnt(0)
	v_add_f64 v[4:5], v[2:3], v[4:5]
	v_cmp_gt_u32_e32 vcc, s4, v6
	v_lshlrev_b32_e32 v9, 1, v9
	v_cndmask_b32_e32 v7, v3, v5, vcc
	v_cndmask_b32_e32 v6, v2, v4, vcc
	v_add_lshl_u32 v1, v9, v1, 2
	ds_bpermute_b32 v6, v1, v6
	ds_bpermute_b32 v7, v1, v7
	s_and_saveexec_b64 s[0:1], vcc
	s_cbranch_execz .LBB6_16
; %bb.15:
	v_add_u32_e32 v1, 2, v8
	s_waitcnt lgkmcnt(0)
	v_add_f64 v[2:3], v[4:5], v[6:7]
	v_cmp_gt_u32_e32 vcc, s4, v1
	v_cndmask_b32_e32 v3, v5, v3, vcc
	v_cndmask_b32_e32 v2, v4, v2, vcc
.LBB6_16:
	s_or_b64 exec, exec, s[0:1]
.LBB6_17:
	s_or_b64 exec, exec, s[2:3]
.LBB6_18:
	v_cmp_eq_u32_e32 vcc, 0, v0
	s_and_saveexec_b64 s[0:1], vcc
	s_cbranch_execnz .LBB6_20
; %bb.19:
	s_endpgm
.LBB6_20:
	s_lshl_b64 s[0:1], s[6:7], 3
	s_add_u32 s0, s12, s0
	s_addc_u32 s1, s13, s1
	s_cmp_eq_u64 s[10:11], 0
	v_add_f64 v[0:1], v[2:3], s[14:15]
	v_mov_b32_e32 v2, s15
	s_cselect_b64 vcc, -1, 0
	v_cndmask_b32_e32 v1, v1, v2, vcc
	v_mov_b32_e32 v2, s14
	v_mov_b32_e32 v4, 0
	v_cndmask_b32_e32 v0, v0, v2, vcc
	global_store_dwordx2 v4, v[0:1], s[0:1]
	s_endpgm
	.section	.rodata,"a",@progbits
	.p2align	6, 0x0
	.amdhsa_kernel _ZN7rocprim6detail19block_reduce_kernelILb1ELb0ELj8ENS0_21wrapped_reduce_configINS_14default_configEdEEdPdS5_dNS_4plusIdEEEEvT4_mT5_T6_T7_
		.amdhsa_group_segment_fixed_size 64
		.amdhsa_private_segment_fixed_size 0
		.amdhsa_kernarg_size 36
		.amdhsa_user_sgpr_count 6
		.amdhsa_user_sgpr_private_segment_buffer 1
		.amdhsa_user_sgpr_dispatch_ptr 0
		.amdhsa_user_sgpr_queue_ptr 0
		.amdhsa_user_sgpr_kernarg_segment_ptr 1
		.amdhsa_user_sgpr_dispatch_id 0
		.amdhsa_user_sgpr_flat_scratch_init 0
		.amdhsa_user_sgpr_kernarg_preload_length 0
		.amdhsa_user_sgpr_kernarg_preload_offset 0
		.amdhsa_user_sgpr_private_segment_size 0
		.amdhsa_uses_dynamic_stack 0
		.amdhsa_system_sgpr_private_segment_wavefront_offset 0
		.amdhsa_system_sgpr_workgroup_id_x 1
		.amdhsa_system_sgpr_workgroup_id_y 0
		.amdhsa_system_sgpr_workgroup_id_z 0
		.amdhsa_system_sgpr_workgroup_info 0
		.amdhsa_system_vgpr_workitem_id 0
		.amdhsa_next_free_vgpr 10
		.amdhsa_next_free_sgpr 16
		.amdhsa_accum_offset 12
		.amdhsa_reserve_vcc 1
		.amdhsa_reserve_flat_scratch 0
		.amdhsa_float_round_mode_32 0
		.amdhsa_float_round_mode_16_64 0
		.amdhsa_float_denorm_mode_32 3
		.amdhsa_float_denorm_mode_16_64 3
		.amdhsa_dx10_clamp 1
		.amdhsa_ieee_mode 1
		.amdhsa_fp16_overflow 0
		.amdhsa_tg_split 0
		.amdhsa_exception_fp_ieee_invalid_op 0
		.amdhsa_exception_fp_denorm_src 0
		.amdhsa_exception_fp_ieee_div_zero 0
		.amdhsa_exception_fp_ieee_overflow 0
		.amdhsa_exception_fp_ieee_underflow 0
		.amdhsa_exception_fp_ieee_inexact 0
		.amdhsa_exception_int_div_zero 0
	.end_amdhsa_kernel
	.section	.text._ZN7rocprim6detail19block_reduce_kernelILb1ELb0ELj8ENS0_21wrapped_reduce_configINS_14default_configEdEEdPdS5_dNS_4plusIdEEEEvT4_mT5_T6_T7_,"axG",@progbits,_ZN7rocprim6detail19block_reduce_kernelILb1ELb0ELj8ENS0_21wrapped_reduce_configINS_14default_configEdEEdPdS5_dNS_4plusIdEEEEvT4_mT5_T6_T7_,comdat
.Lfunc_end6:
	.size	_ZN7rocprim6detail19block_reduce_kernelILb1ELb0ELj8ENS0_21wrapped_reduce_configINS_14default_configEdEEdPdS5_dNS_4plusIdEEEEvT4_mT5_T6_T7_, .Lfunc_end6-_ZN7rocprim6detail19block_reduce_kernelILb1ELb0ELj8ENS0_21wrapped_reduce_configINS_14default_configEdEEdPdS5_dNS_4plusIdEEEEvT4_mT5_T6_T7_
                                        ; -- End function
	.section	.AMDGPU.csdata,"",@progbits
; Kernel info:
; codeLenInByte = 1300
; NumSgprs: 20
; NumVgprs: 10
; NumAgprs: 0
; TotalNumVgprs: 10
; ScratchSize: 0
; MemoryBound: 1
; FloatMode: 240
; IeeeMode: 1
; LDSByteSize: 64 bytes/workgroup (compile time only)
; SGPRBlocks: 2
; VGPRBlocks: 1
; NumSGPRsForWavesPerEU: 20
; NumVGPRsForWavesPerEU: 10
; AccumOffset: 12
; Occupancy: 8
; WaveLimiterHint : 1
; COMPUTE_PGM_RSRC2:SCRATCH_EN: 0
; COMPUTE_PGM_RSRC2:USER_SGPR: 6
; COMPUTE_PGM_RSRC2:TRAP_HANDLER: 0
; COMPUTE_PGM_RSRC2:TGID_X_EN: 1
; COMPUTE_PGM_RSRC2:TGID_Y_EN: 0
; COMPUTE_PGM_RSRC2:TGID_Z_EN: 0
; COMPUTE_PGM_RSRC2:TIDIG_COMP_CNT: 0
; COMPUTE_PGM_RSRC3_GFX90A:ACCUM_OFFSET: 2
; COMPUTE_PGM_RSRC3_GFX90A:TG_SPLIT: 0
	.section	.text._ZN7rocprim6detail19block_reduce_kernelILb1ELb0ELj4ENS0_21wrapped_reduce_configINS_14default_configEdEEdPdS5_dNS_4plusIdEEEEvT4_mT5_T6_T7_,"axG",@progbits,_ZN7rocprim6detail19block_reduce_kernelILb1ELb0ELj4ENS0_21wrapped_reduce_configINS_14default_configEdEEdPdS5_dNS_4plusIdEEEEvT4_mT5_T6_T7_,comdat
	.protected	_ZN7rocprim6detail19block_reduce_kernelILb1ELb0ELj4ENS0_21wrapped_reduce_configINS_14default_configEdEEdPdS5_dNS_4plusIdEEEEvT4_mT5_T6_T7_ ; -- Begin function _ZN7rocprim6detail19block_reduce_kernelILb1ELb0ELj4ENS0_21wrapped_reduce_configINS_14default_configEdEEdPdS5_dNS_4plusIdEEEEvT4_mT5_T6_T7_
	.globl	_ZN7rocprim6detail19block_reduce_kernelILb1ELb0ELj4ENS0_21wrapped_reduce_configINS_14default_configEdEEdPdS5_dNS_4plusIdEEEEvT4_mT5_T6_T7_
	.p2align	8
	.type	_ZN7rocprim6detail19block_reduce_kernelILb1ELb0ELj4ENS0_21wrapped_reduce_configINS_14default_configEdEEdPdS5_dNS_4plusIdEEEEvT4_mT5_T6_T7_,@function
_ZN7rocprim6detail19block_reduce_kernelILb1ELb0ELj4ENS0_21wrapped_reduce_configINS_14default_configEdEEdPdS5_dNS_4plusIdEEEEvT4_mT5_T6_T7_: ; @_ZN7rocprim6detail19block_reduce_kernelILb1ELb0ELj4ENS0_21wrapped_reduce_configINS_14default_configEdEEdPdS5_dNS_4plusIdEEEEvT4_mT5_T6_T7_
; %bb.0:
	s_load_dwordx8 s[8:15], s[4:5], 0x0
	s_lshl_b32 s0, s6, 10
	s_mov_b32 s1, 0
	s_lshl_b64 s[4:5], s[0:1], 3
	s_mov_b32 s7, s1
	s_waitcnt lgkmcnt(0)
	s_lshr_b64 s[2:3], s[10:11], 10
	s_add_u32 s1, s8, s4
	s_addc_u32 s4, s9, s5
	v_lshlrev_b32_e32 v1, 3, v0
	v_mov_b32_e32 v2, s4
	v_add_co_u32_e32 v10, vcc, s1, v1
	s_cmp_lg_u64 s[2:3], s[6:7]
	v_addc_co_u32_e32 v11, vcc, 0, v2, vcc
	v_mbcnt_lo_u32_b32 v1, -1, 0
	s_cbranch_scc0 .LBB7_6
; %bb.1:
	v_add_co_u32_e32 v2, vcc, 0x1000, v10
	v_addc_co_u32_e32 v3, vcc, 0, v11, vcc
	global_load_dwordx2 v[6:7], v[10:11], off
	global_load_dwordx2 v[8:9], v[10:11], off offset:2048
	global_load_dwordx2 v[12:13], v[2:3], off
	global_load_dwordx2 v[14:15], v[2:3], off offset:2048
	v_mbcnt_hi_u32_b32 v4, -1, v1
	v_bfrev_b32_e32 v2, 0.5
	v_lshl_or_b32 v5, v4, 2, v2
	v_cmp_eq_u32_e32 vcc, 0, v4
	s_waitcnt vmcnt(2)
	v_add_f64 v[2:3], v[6:7], v[8:9]
	s_waitcnt vmcnt(1)
	v_add_f64 v[2:3], v[2:3], v[12:13]
	;; [unrolled: 2-line block ×3, first 2 shown]
	s_nop 1
	v_mov_b32_dpp v6, v2 quad_perm:[1,0,3,2] row_mask:0xf bank_mask:0xf
	v_mov_b32_dpp v7, v3 quad_perm:[1,0,3,2] row_mask:0xf bank_mask:0xf
	v_add_f64 v[2:3], v[2:3], v[6:7]
	s_nop 1
	v_mov_b32_dpp v6, v2 quad_perm:[2,3,0,1] row_mask:0xf bank_mask:0xf
	v_mov_b32_dpp v7, v3 quad_perm:[2,3,0,1] row_mask:0xf bank_mask:0xf
	v_add_f64 v[2:3], v[2:3], v[6:7]
	s_nop 1
	v_mov_b32_dpp v6, v2 row_ror:4 row_mask:0xf bank_mask:0xf
	v_mov_b32_dpp v7, v3 row_ror:4 row_mask:0xf bank_mask:0xf
	v_add_f64 v[2:3], v[2:3], v[6:7]
	s_nop 1
	v_mov_b32_dpp v6, v2 row_ror:8 row_mask:0xf bank_mask:0xf
	v_mov_b32_dpp v7, v3 row_ror:8 row_mask:0xf bank_mask:0xf
	v_add_f64 v[2:3], v[2:3], v[6:7]
	s_nop 1
	v_mov_b32_dpp v6, v2 row_bcast:15 row_mask:0xf bank_mask:0xf
	v_mov_b32_dpp v7, v3 row_bcast:15 row_mask:0xf bank_mask:0xf
	v_add_f64 v[2:3], v[2:3], v[6:7]
	s_nop 1
	v_mov_b32_dpp v6, v2 row_bcast:31 row_mask:0xf bank_mask:0xf
	v_mov_b32_dpp v7, v3 row_bcast:31 row_mask:0xf bank_mask:0xf
	v_add_f64 v[2:3], v[2:3], v[6:7]
	ds_bpermute_b32 v2, v5, v2
	ds_bpermute_b32 v3, v5, v3
	s_and_saveexec_b64 s[2:3], vcc
	s_cbranch_execz .LBB7_3
; %bb.2:
	v_lshrrev_b32_e32 v5, 3, v0
	v_and_b32_e32 v5, 24, v5
	s_waitcnt lgkmcnt(0)
	ds_write_b64 v5, v[2:3]
.LBB7_3:
	s_or_b64 exec, exec, s[2:3]
	v_cmp_gt_u32_e32 vcc, 64, v0
	s_waitcnt lgkmcnt(0)
	s_barrier
	s_and_saveexec_b64 s[2:3], vcc
	s_cbranch_execz .LBB7_5
; %bb.4:
	v_and_b32_e32 v5, 3, v4
	v_lshlrev_b32_e32 v2, 3, v5
	ds_read_b64 v[2:3], v2
	v_cmp_ne_u32_e32 vcc, 3, v5
	v_addc_co_u32_e32 v6, vcc, 0, v4, vcc
	v_lshlrev_b32_e32 v7, 2, v6
	s_waitcnt lgkmcnt(0)
	ds_bpermute_b32 v6, v7, v2
	ds_bpermute_b32 v7, v7, v3
	v_cmp_gt_u32_e32 vcc, 2, v5
	v_cndmask_b32_e64 v5, 0, 1, vcc
	v_lshlrev_b32_e32 v5, 1, v5
	v_add_lshl_u32 v5, v5, v4, 2
	s_waitcnt lgkmcnt(0)
	v_add_f64 v[2:3], v[2:3], v[6:7]
	ds_bpermute_b32 v4, v5, v2
	ds_bpermute_b32 v5, v5, v3
	s_waitcnt lgkmcnt(0)
	v_add_f64 v[2:3], v[2:3], v[4:5]
.LBB7_5:
	s_or_b64 exec, exec, s[2:3]
	s_branch .LBB7_22
.LBB7_6:
                                        ; implicit-def: $vgpr2_vgpr3
	s_cbranch_execz .LBB7_22
; %bb.7:
	s_sub_i32 s16, s10, s0
	v_cmp_gt_u32_e32 vcc, s16, v0
                                        ; implicit-def: $vgpr2_vgpr3_vgpr4_vgpr5_vgpr6_vgpr7_vgpr8_vgpr9
	s_and_saveexec_b64 s[0:1], vcc
	s_cbranch_execz .LBB7_9
; %bb.8:
	global_load_dwordx2 v[2:3], v[10:11], off
.LBB7_9:
	s_or_b64 exec, exec, s[0:1]
	v_or_b32_e32 v12, 0x100, v0
	v_cmp_gt_u32_e64 s[0:1], s16, v12
	s_and_saveexec_b64 s[2:3], s[0:1]
	s_cbranch_execz .LBB7_11
; %bb.10:
	global_load_dwordx2 v[4:5], v[10:11], off offset:2048
.LBB7_11:
	s_or_b64 exec, exec, s[2:3]
	v_or_b32_e32 v12, 0x200, v0
	v_cmp_gt_u32_e64 s[2:3], s16, v12
	s_and_saveexec_b64 s[4:5], s[2:3]
	s_cbranch_execz .LBB7_13
; %bb.12:
	v_add_co_u32_e32 v6, vcc, 0x1000, v10
	v_addc_co_u32_e32 v7, vcc, 0, v11, vcc
	global_load_dwordx2 v[6:7], v[6:7], off
.LBB7_13:
	s_or_b64 exec, exec, s[4:5]
	v_or_b32_e32 v12, 0x300, v0
	v_cmp_gt_u32_e64 s[4:5], s16, v12
	s_and_saveexec_b64 s[8:9], s[4:5]
	s_cbranch_execz .LBB7_15
; %bb.14:
	v_add_co_u32_e32 v8, vcc, 0x1000, v10
	v_addc_co_u32_e32 v9, vcc, 0, v11, vcc
	global_load_dwordx2 v[8:9], v[8:9], off offset:2048
.LBB7_15:
	s_or_b64 exec, exec, s[8:9]
	s_waitcnt vmcnt(0)
	v_add_f64 v[4:5], v[2:3], v[4:5]
	v_cndmask_b32_e64 v3, v3, v5, s[0:1]
	v_cndmask_b32_e64 v2, v2, v4, s[0:1]
	v_add_f64 v[4:5], v[6:7], v[2:3]
	v_mbcnt_hi_u32_b32 v1, -1, v1
	v_cndmask_b32_e64 v3, v3, v5, s[2:3]
	v_cndmask_b32_e64 v2, v2, v4, s[2:3]
	v_and_b32_e32 v6, 63, v1
	v_add_f64 v[4:5], v[8:9], v[2:3]
	v_cmp_ne_u32_e32 vcc, 63, v6
	v_cndmask_b32_e64 v2, v2, v4, s[4:5]
	v_addc_co_u32_e32 v4, vcc, 0, v1, vcc
	v_cndmask_b32_e64 v3, v3, v5, s[4:5]
	v_lshlrev_b32_e32 v5, 2, v4
	ds_bpermute_b32 v4, v5, v2
	ds_bpermute_b32 v5, v5, v3
	s_min_u32 s4, s16, 0x100
	v_and_b32_e32 v7, 0xc0, v0
	v_sub_u32_e64 v7, s4, v7 clamp
	v_add_u32_e32 v8, 1, v1
	s_waitcnt lgkmcnt(0)
	v_add_f64 v[4:5], v[2:3], v[4:5]
	v_cmp_lt_u32_e32 vcc, v8, v7
	v_cndmask_b32_e32 v2, v2, v4, vcc
	v_cndmask_b32_e32 v3, v3, v5, vcc
	v_cmp_gt_u32_e32 vcc, 62, v6
	v_cndmask_b32_e64 v4, 0, 1, vcc
	v_lshlrev_b32_e32 v4, 1, v4
	v_add_lshl_u32 v5, v4, v1, 2
	ds_bpermute_b32 v4, v5, v2
	ds_bpermute_b32 v5, v5, v3
	v_add_u32_e32 v8, 2, v1
	v_cmp_lt_u32_e32 vcc, v8, v7
	v_add_u32_e32 v8, 4, v1
	v_cmp_gt_u32_e64 s[0:1], 32, v6
	s_waitcnt lgkmcnt(0)
	v_add_f64 v[4:5], v[2:3], v[4:5]
	v_cndmask_b32_e32 v2, v2, v4, vcc
	v_cndmask_b32_e32 v3, v3, v5, vcc
	v_cmp_gt_u32_e32 vcc, 60, v6
	v_cndmask_b32_e64 v4, 0, 1, vcc
	v_lshlrev_b32_e32 v4, 2, v4
	v_add_lshl_u32 v5, v4, v1, 2
	ds_bpermute_b32 v4, v5, v2
	ds_bpermute_b32 v5, v5, v3
	v_cmp_lt_u32_e32 vcc, v8, v7
	v_add_u32_e32 v8, 8, v1
	s_waitcnt lgkmcnt(0)
	v_add_f64 v[4:5], v[2:3], v[4:5]
	v_cndmask_b32_e32 v2, v2, v4, vcc
	v_cndmask_b32_e32 v3, v3, v5, vcc
	v_cmp_gt_u32_e32 vcc, 56, v6
	v_cndmask_b32_e64 v4, 0, 1, vcc
	v_lshlrev_b32_e32 v4, 3, v4
	v_add_lshl_u32 v5, v4, v1, 2
	ds_bpermute_b32 v4, v5, v2
	ds_bpermute_b32 v5, v5, v3
	v_cmp_lt_u32_e32 vcc, v8, v7
	v_add_u32_e32 v8, 16, v1
	s_waitcnt lgkmcnt(0)
	v_add_f64 v[4:5], v[2:3], v[4:5]
	v_cndmask_b32_e32 v2, v2, v4, vcc
	v_cndmask_b32_e32 v3, v3, v5, vcc
	v_cmp_gt_u32_e32 vcc, 48, v6
	v_cndmask_b32_e64 v4, 0, 1, vcc
	v_lshlrev_b32_e32 v4, 4, v4
	v_add_lshl_u32 v5, v4, v1, 2
	ds_bpermute_b32 v4, v5, v2
	ds_bpermute_b32 v5, v5, v3
	v_cmp_lt_u32_e32 vcc, v8, v7
	s_waitcnt lgkmcnt(0)
	v_add_f64 v[4:5], v[2:3], v[4:5]
	v_cndmask_b32_e32 v2, v2, v4, vcc
	v_cndmask_b32_e64 v4, 0, 1, s[0:1]
	v_lshlrev_b32_e32 v4, 5, v4
	v_add_lshl_u32 v6, v4, v1, 2
	v_cndmask_b32_e32 v3, v3, v5, vcc
	ds_bpermute_b32 v4, v6, v2
	ds_bpermute_b32 v5, v6, v3
	v_add_u32_e32 v6, 32, v1
	v_cmp_lt_u32_e32 vcc, v6, v7
	s_waitcnt lgkmcnt(0)
	v_add_f64 v[4:5], v[2:3], v[4:5]
	v_cndmask_b32_e32 v3, v3, v5, vcc
	v_cndmask_b32_e32 v2, v2, v4, vcc
	v_cmp_eq_u32_e32 vcc, 0, v1
	s_and_saveexec_b64 s[0:1], vcc
	s_cbranch_execz .LBB7_17
; %bb.16:
	v_lshrrev_b32_e32 v4, 3, v0
	v_and_b32_e32 v4, 24, v4
	ds_write_b64 v4, v[2:3] offset:32
.LBB7_17:
	s_or_b64 exec, exec, s[0:1]
	v_cmp_gt_u32_e32 vcc, 4, v0
	s_waitcnt lgkmcnt(0)
	s_barrier
	s_and_saveexec_b64 s[2:3], vcc
	s_cbranch_execz .LBB7_21
; %bb.18:
	v_lshlrev_b32_e32 v2, 3, v1
	ds_read_b64 v[2:3], v2 offset:32
	v_and_b32_e32 v8, 3, v1
	v_cmp_ne_u32_e32 vcc, 3, v8
	v_addc_co_u32_e32 v4, vcc, 0, v1, vcc
	v_lshlrev_b32_e32 v5, 2, v4
	s_waitcnt lgkmcnt(0)
	ds_bpermute_b32 v4, v5, v2
	ds_bpermute_b32 v5, v5, v3
	s_add_i32 s4, s4, 63
	v_cmp_gt_u32_e64 s[0:1], 2, v8
	s_lshr_b32 s4, s4, 6
	v_add_u32_e32 v6, 1, v8
	v_cndmask_b32_e64 v9, 0, 1, s[0:1]
	s_waitcnt lgkmcnt(0)
	v_add_f64 v[4:5], v[2:3], v[4:5]
	v_cmp_gt_u32_e32 vcc, s4, v6
	v_lshlrev_b32_e32 v9, 1, v9
	v_cndmask_b32_e32 v7, v3, v5, vcc
	v_cndmask_b32_e32 v6, v2, v4, vcc
	v_add_lshl_u32 v1, v9, v1, 2
	ds_bpermute_b32 v6, v1, v6
	ds_bpermute_b32 v7, v1, v7
	s_and_saveexec_b64 s[0:1], vcc
	s_cbranch_execz .LBB7_20
; %bb.19:
	v_add_u32_e32 v1, 2, v8
	s_waitcnt lgkmcnt(0)
	v_add_f64 v[2:3], v[4:5], v[6:7]
	v_cmp_gt_u32_e32 vcc, s4, v1
	v_cndmask_b32_e32 v3, v5, v3, vcc
	v_cndmask_b32_e32 v2, v4, v2, vcc
.LBB7_20:
	s_or_b64 exec, exec, s[0:1]
.LBB7_21:
	s_or_b64 exec, exec, s[2:3]
.LBB7_22:
	v_cmp_eq_u32_e32 vcc, 0, v0
	s_and_saveexec_b64 s[0:1], vcc
	s_cbranch_execnz .LBB7_24
; %bb.23:
	s_endpgm
.LBB7_24:
	s_lshl_b64 s[0:1], s[6:7], 3
	s_add_u32 s0, s12, s0
	s_addc_u32 s1, s13, s1
	s_cmp_eq_u64 s[10:11], 0
	v_add_f64 v[0:1], v[2:3], s[14:15]
	v_mov_b32_e32 v2, s15
	s_cselect_b64 vcc, -1, 0
	v_cndmask_b32_e32 v1, v1, v2, vcc
	v_mov_b32_e32 v2, s14
	v_mov_b32_e32 v4, 0
	v_cndmask_b32_e32 v0, v0, v2, vcc
	global_store_dwordx2 v4, v[0:1], s[0:1]
	s_endpgm
	.section	.rodata,"a",@progbits
	.p2align	6, 0x0
	.amdhsa_kernel _ZN7rocprim6detail19block_reduce_kernelILb1ELb0ELj4ENS0_21wrapped_reduce_configINS_14default_configEdEEdPdS5_dNS_4plusIdEEEEvT4_mT5_T6_T7_
		.amdhsa_group_segment_fixed_size 64
		.amdhsa_private_segment_fixed_size 0
		.amdhsa_kernarg_size 36
		.amdhsa_user_sgpr_count 6
		.amdhsa_user_sgpr_private_segment_buffer 1
		.amdhsa_user_sgpr_dispatch_ptr 0
		.amdhsa_user_sgpr_queue_ptr 0
		.amdhsa_user_sgpr_kernarg_segment_ptr 1
		.amdhsa_user_sgpr_dispatch_id 0
		.amdhsa_user_sgpr_flat_scratch_init 0
		.amdhsa_user_sgpr_kernarg_preload_length 0
		.amdhsa_user_sgpr_kernarg_preload_offset 0
		.amdhsa_user_sgpr_private_segment_size 0
		.amdhsa_uses_dynamic_stack 0
		.amdhsa_system_sgpr_private_segment_wavefront_offset 0
		.amdhsa_system_sgpr_workgroup_id_x 1
		.amdhsa_system_sgpr_workgroup_id_y 0
		.amdhsa_system_sgpr_workgroup_id_z 0
		.amdhsa_system_sgpr_workgroup_info 0
		.amdhsa_system_vgpr_workitem_id 0
		.amdhsa_next_free_vgpr 16
		.amdhsa_next_free_sgpr 17
		.amdhsa_accum_offset 16
		.amdhsa_reserve_vcc 1
		.amdhsa_reserve_flat_scratch 0
		.amdhsa_float_round_mode_32 0
		.amdhsa_float_round_mode_16_64 0
		.amdhsa_float_denorm_mode_32 3
		.amdhsa_float_denorm_mode_16_64 3
		.amdhsa_dx10_clamp 1
		.amdhsa_ieee_mode 1
		.amdhsa_fp16_overflow 0
		.amdhsa_tg_split 0
		.amdhsa_exception_fp_ieee_invalid_op 0
		.amdhsa_exception_fp_denorm_src 0
		.amdhsa_exception_fp_ieee_div_zero 0
		.amdhsa_exception_fp_ieee_overflow 0
		.amdhsa_exception_fp_ieee_underflow 0
		.amdhsa_exception_fp_ieee_inexact 0
		.amdhsa_exception_int_div_zero 0
	.end_amdhsa_kernel
	.section	.text._ZN7rocprim6detail19block_reduce_kernelILb1ELb0ELj4ENS0_21wrapped_reduce_configINS_14default_configEdEEdPdS5_dNS_4plusIdEEEEvT4_mT5_T6_T7_,"axG",@progbits,_ZN7rocprim6detail19block_reduce_kernelILb1ELb0ELj4ENS0_21wrapped_reduce_configINS_14default_configEdEEdPdS5_dNS_4plusIdEEEEvT4_mT5_T6_T7_,comdat
.Lfunc_end7:
	.size	_ZN7rocprim6detail19block_reduce_kernelILb1ELb0ELj4ENS0_21wrapped_reduce_configINS_14default_configEdEEdPdS5_dNS_4plusIdEEEEvT4_mT5_T6_T7_, .Lfunc_end7-_ZN7rocprim6detail19block_reduce_kernelILb1ELb0ELj4ENS0_21wrapped_reduce_configINS_14default_configEdEEdPdS5_dNS_4plusIdEEEEvT4_mT5_T6_T7_
                                        ; -- End function
	.section	.AMDGPU.csdata,"",@progbits
; Kernel info:
; codeLenInByte = 1508
; NumSgprs: 21
; NumVgprs: 16
; NumAgprs: 0
; TotalNumVgprs: 16
; ScratchSize: 0
; MemoryBound: 1
; FloatMode: 240
; IeeeMode: 1
; LDSByteSize: 64 bytes/workgroup (compile time only)
; SGPRBlocks: 2
; VGPRBlocks: 1
; NumSGPRsForWavesPerEU: 21
; NumVGPRsForWavesPerEU: 16
; AccumOffset: 16
; Occupancy: 8
; WaveLimiterHint : 1
; COMPUTE_PGM_RSRC2:SCRATCH_EN: 0
; COMPUTE_PGM_RSRC2:USER_SGPR: 6
; COMPUTE_PGM_RSRC2:TRAP_HANDLER: 0
; COMPUTE_PGM_RSRC2:TGID_X_EN: 1
; COMPUTE_PGM_RSRC2:TGID_Y_EN: 0
; COMPUTE_PGM_RSRC2:TGID_Z_EN: 0
; COMPUTE_PGM_RSRC2:TIDIG_COMP_CNT: 0
; COMPUTE_PGM_RSRC3_GFX90A:ACCUM_OFFSET: 3
; COMPUTE_PGM_RSRC3_GFX90A:TG_SPLIT: 0
	.section	.text._ZN7rocprim6detail19block_reduce_kernelILb1ELb0ELj2ENS0_21wrapped_reduce_configINS_14default_configEdEEdPdS5_dNS_4plusIdEEEEvT4_mT5_T6_T7_,"axG",@progbits,_ZN7rocprim6detail19block_reduce_kernelILb1ELb0ELj2ENS0_21wrapped_reduce_configINS_14default_configEdEEdPdS5_dNS_4plusIdEEEEvT4_mT5_T6_T7_,comdat
	.protected	_ZN7rocprim6detail19block_reduce_kernelILb1ELb0ELj2ENS0_21wrapped_reduce_configINS_14default_configEdEEdPdS5_dNS_4plusIdEEEEvT4_mT5_T6_T7_ ; -- Begin function _ZN7rocprim6detail19block_reduce_kernelILb1ELb0ELj2ENS0_21wrapped_reduce_configINS_14default_configEdEEdPdS5_dNS_4plusIdEEEEvT4_mT5_T6_T7_
	.globl	_ZN7rocprim6detail19block_reduce_kernelILb1ELb0ELj2ENS0_21wrapped_reduce_configINS_14default_configEdEEdPdS5_dNS_4plusIdEEEEvT4_mT5_T6_T7_
	.p2align	8
	.type	_ZN7rocprim6detail19block_reduce_kernelILb1ELb0ELj2ENS0_21wrapped_reduce_configINS_14default_configEdEEdPdS5_dNS_4plusIdEEEEvT4_mT5_T6_T7_,@function
_ZN7rocprim6detail19block_reduce_kernelILb1ELb0ELj2ENS0_21wrapped_reduce_configINS_14default_configEdEEdPdS5_dNS_4plusIdEEEEvT4_mT5_T6_T7_: ; @_ZN7rocprim6detail19block_reduce_kernelILb1ELb0ELj2ENS0_21wrapped_reduce_configINS_14default_configEdEEdPdS5_dNS_4plusIdEEEEvT4_mT5_T6_T7_
; %bb.0:
	s_load_dwordx8 s[16:23], s[4:5], 0x0
	s_lshl_b32 s0, s6, 11
	s_mov_b32 s1, 0
	s_lshl_b64 s[4:5], s[0:1], 3
	s_mov_b32 s7, s1
	s_waitcnt lgkmcnt(0)
	s_lshr_b64 s[2:3], s[18:19], 11
	s_add_u32 s1, s16, s4
	s_addc_u32 s4, s17, s5
	v_lshlrev_b32_e32 v1, 3, v0
	v_mov_b32_e32 v2, s4
	v_add_co_u32_e32 v18, vcc, s1, v1
	s_cmp_lg_u64 s[2:3], s[6:7]
	v_addc_co_u32_e32 v19, vcc, 0, v2, vcc
	v_mbcnt_lo_u32_b32 v1, -1, 0
	s_cbranch_scc0 .LBB8_6
; %bb.1:
	v_add_co_u32_e32 v2, vcc, 0x1000, v18
	v_addc_co_u32_e32 v3, vcc, 0, v19, vcc
	global_load_dwordx2 v[6:7], v[18:19], off
	global_load_dwordx2 v[8:9], v[18:19], off offset:2048
	global_load_dwordx2 v[10:11], v[2:3], off
	global_load_dwordx2 v[12:13], v[2:3], off offset:2048
	v_add_co_u32_e32 v2, vcc, 0x2000, v18
	v_addc_co_u32_e32 v3, vcc, 0, v19, vcc
	v_add_co_u32_e32 v4, vcc, 0x3000, v18
	v_addc_co_u32_e32 v5, vcc, 0, v19, vcc
	global_load_dwordx2 v[14:15], v[2:3], off
	global_load_dwordx2 v[16:17], v[2:3], off offset:2048
	global_load_dwordx2 v[20:21], v[4:5], off
	global_load_dwordx2 v[22:23], v[4:5], off offset:2048
	v_mbcnt_hi_u32_b32 v4, -1, v1
	v_bfrev_b32_e32 v2, 0.5
	v_lshl_or_b32 v5, v4, 2, v2
	v_cmp_eq_u32_e32 vcc, 0, v4
	s_waitcnt vmcnt(6)
	v_add_f64 v[2:3], v[6:7], v[8:9]
	s_waitcnt vmcnt(5)
	v_add_f64 v[2:3], v[2:3], v[10:11]
	;; [unrolled: 2-line block ×7, first 2 shown]
	s_nop 1
	v_mov_b32_dpp v6, v2 quad_perm:[1,0,3,2] row_mask:0xf bank_mask:0xf
	v_mov_b32_dpp v7, v3 quad_perm:[1,0,3,2] row_mask:0xf bank_mask:0xf
	v_add_f64 v[2:3], v[2:3], v[6:7]
	s_nop 1
	v_mov_b32_dpp v6, v2 quad_perm:[2,3,0,1] row_mask:0xf bank_mask:0xf
	v_mov_b32_dpp v7, v3 quad_perm:[2,3,0,1] row_mask:0xf bank_mask:0xf
	v_add_f64 v[2:3], v[2:3], v[6:7]
	s_nop 1
	v_mov_b32_dpp v6, v2 row_ror:4 row_mask:0xf bank_mask:0xf
	v_mov_b32_dpp v7, v3 row_ror:4 row_mask:0xf bank_mask:0xf
	v_add_f64 v[2:3], v[2:3], v[6:7]
	s_nop 1
	v_mov_b32_dpp v6, v2 row_ror:8 row_mask:0xf bank_mask:0xf
	v_mov_b32_dpp v7, v3 row_ror:8 row_mask:0xf bank_mask:0xf
	v_add_f64 v[2:3], v[2:3], v[6:7]
	s_nop 1
	v_mov_b32_dpp v6, v2 row_bcast:15 row_mask:0xf bank_mask:0xf
	v_mov_b32_dpp v7, v3 row_bcast:15 row_mask:0xf bank_mask:0xf
	v_add_f64 v[2:3], v[2:3], v[6:7]
	s_nop 1
	v_mov_b32_dpp v6, v2 row_bcast:31 row_mask:0xf bank_mask:0xf
	v_mov_b32_dpp v7, v3 row_bcast:31 row_mask:0xf bank_mask:0xf
	v_add_f64 v[2:3], v[2:3], v[6:7]
	ds_bpermute_b32 v2, v5, v2
	ds_bpermute_b32 v3, v5, v3
	s_and_saveexec_b64 s[2:3], vcc
	s_cbranch_execz .LBB8_3
; %bb.2:
	v_lshrrev_b32_e32 v5, 3, v0
	v_and_b32_e32 v5, 24, v5
	s_waitcnt lgkmcnt(0)
	ds_write_b64 v5, v[2:3]
.LBB8_3:
	s_or_b64 exec, exec, s[2:3]
	v_cmp_gt_u32_e32 vcc, 64, v0
	s_waitcnt lgkmcnt(0)
	s_barrier
	s_and_saveexec_b64 s[2:3], vcc
	s_cbranch_execz .LBB8_5
; %bb.4:
	v_and_b32_e32 v5, 3, v4
	v_lshlrev_b32_e32 v2, 3, v5
	ds_read_b64 v[2:3], v2
	v_cmp_ne_u32_e32 vcc, 3, v5
	v_addc_co_u32_e32 v6, vcc, 0, v4, vcc
	v_lshlrev_b32_e32 v7, 2, v6
	s_waitcnt lgkmcnt(0)
	ds_bpermute_b32 v6, v7, v2
	ds_bpermute_b32 v7, v7, v3
	v_cmp_gt_u32_e32 vcc, 2, v5
	v_cndmask_b32_e64 v5, 0, 1, vcc
	v_lshlrev_b32_e32 v5, 1, v5
	v_add_lshl_u32 v5, v5, v4, 2
	s_waitcnt lgkmcnt(0)
	v_add_f64 v[2:3], v[2:3], v[6:7]
	ds_bpermute_b32 v4, v5, v2
	ds_bpermute_b32 v5, v5, v3
	s_waitcnt lgkmcnt(0)
	v_add_f64 v[2:3], v[2:3], v[4:5]
.LBB8_5:
	s_or_b64 exec, exec, s[2:3]
	s_branch .LBB8_30
.LBB8_6:
                                        ; implicit-def: $vgpr2_vgpr3
	s_cbranch_execz .LBB8_30
; %bb.7:
	s_sub_i32 s24, s18, s0
	v_cmp_gt_u32_e32 vcc, s24, v0
                                        ; implicit-def: $vgpr2_vgpr3_vgpr4_vgpr5_vgpr6_vgpr7_vgpr8_vgpr9_vgpr10_vgpr11_vgpr12_vgpr13_vgpr14_vgpr15_vgpr16_vgpr17
	s_and_saveexec_b64 s[0:1], vcc
	s_cbranch_execz .LBB8_9
; %bb.8:
	global_load_dwordx2 v[2:3], v[18:19], off
.LBB8_9:
	s_or_b64 exec, exec, s[0:1]
	v_or_b32_e32 v20, 0x100, v0
	v_cmp_gt_u32_e64 s[0:1], s24, v20
	s_and_saveexec_b64 s[2:3], s[0:1]
	s_cbranch_execz .LBB8_11
; %bb.10:
	global_load_dwordx2 v[4:5], v[18:19], off offset:2048
.LBB8_11:
	s_or_b64 exec, exec, s[2:3]
	v_or_b32_e32 v20, 0x200, v0
	v_cmp_gt_u32_e64 s[2:3], s24, v20
	s_and_saveexec_b64 s[4:5], s[2:3]
	s_cbranch_execz .LBB8_13
; %bb.12:
	v_add_co_u32_e32 v6, vcc, 0x1000, v18
	v_addc_co_u32_e32 v7, vcc, 0, v19, vcc
	global_load_dwordx2 v[6:7], v[6:7], off
.LBB8_13:
	s_or_b64 exec, exec, s[4:5]
	v_or_b32_e32 v20, 0x300, v0
	v_cmp_gt_u32_e64 s[4:5], s24, v20
	s_and_saveexec_b64 s[8:9], s[4:5]
	s_cbranch_execz .LBB8_15
; %bb.14:
	v_add_co_u32_e32 v8, vcc, 0x1000, v18
	v_addc_co_u32_e32 v9, vcc, 0, v19, vcc
	global_load_dwordx2 v[8:9], v[8:9], off offset:2048
.LBB8_15:
	s_or_b64 exec, exec, s[8:9]
	v_or_b32_e32 v20, 0x400, v0
	v_cmp_gt_u32_e64 s[8:9], s24, v20
	s_and_saveexec_b64 s[10:11], s[8:9]
	s_cbranch_execz .LBB8_17
; %bb.16:
	v_add_co_u32_e32 v10, vcc, 0x2000, v18
	v_addc_co_u32_e32 v11, vcc, 0, v19, vcc
	global_load_dwordx2 v[10:11], v[10:11], off
.LBB8_17:
	s_or_b64 exec, exec, s[10:11]
	v_or_b32_e32 v20, 0x500, v0
	v_cmp_gt_u32_e64 s[10:11], s24, v20
	s_and_saveexec_b64 s[12:13], s[10:11]
	s_cbranch_execz .LBB8_19
; %bb.18:
	v_add_co_u32_e32 v12, vcc, 0x2000, v18
	v_addc_co_u32_e32 v13, vcc, 0, v19, vcc
	global_load_dwordx2 v[12:13], v[12:13], off offset:2048
.LBB8_19:
	;; [unrolled: 20-line block ×3, first 2 shown]
	s_or_b64 exec, exec, s[16:17]
	s_waitcnt vmcnt(0)
	v_add_f64 v[4:5], v[2:3], v[4:5]
	v_cndmask_b32_e64 v3, v3, v5, s[0:1]
	v_cndmask_b32_e64 v2, v2, v4, s[0:1]
	v_add_f64 v[4:5], v[6:7], v[2:3]
	v_cndmask_b32_e64 v3, v3, v5, s[2:3]
	v_cndmask_b32_e64 v2, v2, v4, s[2:3]
	;; [unrolled: 3-line block ×5, first 2 shown]
	v_add_f64 v[4:5], v[14:15], v[2:3]
	v_mbcnt_hi_u32_b32 v1, -1, v1
	v_cndmask_b32_e64 v3, v3, v5, s[12:13]
	v_cndmask_b32_e64 v2, v2, v4, s[12:13]
	v_and_b32_e32 v6, 63, v1
	v_add_f64 v[4:5], v[16:17], v[2:3]
	v_cmp_ne_u32_e32 vcc, 63, v6
	v_cndmask_b32_e64 v2, v2, v4, s[14:15]
	v_addc_co_u32_e32 v4, vcc, 0, v1, vcc
	v_cndmask_b32_e64 v3, v3, v5, s[14:15]
	v_lshlrev_b32_e32 v5, 2, v4
	ds_bpermute_b32 v4, v5, v2
	ds_bpermute_b32 v5, v5, v3
	s_min_u32 s4, s24, 0x100
	v_and_b32_e32 v7, 0xc0, v0
	v_sub_u32_e64 v7, s4, v7 clamp
	v_add_u32_e32 v8, 1, v1
	s_waitcnt lgkmcnt(0)
	v_add_f64 v[4:5], v[2:3], v[4:5]
	v_cmp_lt_u32_e32 vcc, v8, v7
	v_cndmask_b32_e32 v2, v2, v4, vcc
	v_cndmask_b32_e32 v3, v3, v5, vcc
	v_cmp_gt_u32_e32 vcc, 62, v6
	v_cndmask_b32_e64 v4, 0, 1, vcc
	v_lshlrev_b32_e32 v4, 1, v4
	v_add_lshl_u32 v5, v4, v1, 2
	ds_bpermute_b32 v4, v5, v2
	ds_bpermute_b32 v5, v5, v3
	v_add_u32_e32 v8, 2, v1
	v_cmp_lt_u32_e32 vcc, v8, v7
	v_add_u32_e32 v8, 4, v1
	v_cmp_gt_u32_e64 s[0:1], 32, v6
	s_waitcnt lgkmcnt(0)
	v_add_f64 v[4:5], v[2:3], v[4:5]
	v_cndmask_b32_e32 v2, v2, v4, vcc
	v_cndmask_b32_e32 v3, v3, v5, vcc
	v_cmp_gt_u32_e32 vcc, 60, v6
	v_cndmask_b32_e64 v4, 0, 1, vcc
	v_lshlrev_b32_e32 v4, 2, v4
	v_add_lshl_u32 v5, v4, v1, 2
	ds_bpermute_b32 v4, v5, v2
	ds_bpermute_b32 v5, v5, v3
	v_cmp_lt_u32_e32 vcc, v8, v7
	v_add_u32_e32 v8, 8, v1
	s_waitcnt lgkmcnt(0)
	v_add_f64 v[4:5], v[2:3], v[4:5]
	v_cndmask_b32_e32 v2, v2, v4, vcc
	v_cndmask_b32_e32 v3, v3, v5, vcc
	v_cmp_gt_u32_e32 vcc, 56, v6
	v_cndmask_b32_e64 v4, 0, 1, vcc
	v_lshlrev_b32_e32 v4, 3, v4
	v_add_lshl_u32 v5, v4, v1, 2
	ds_bpermute_b32 v4, v5, v2
	ds_bpermute_b32 v5, v5, v3
	v_cmp_lt_u32_e32 vcc, v8, v7
	v_add_u32_e32 v8, 16, v1
	s_waitcnt lgkmcnt(0)
	v_add_f64 v[4:5], v[2:3], v[4:5]
	v_cndmask_b32_e32 v2, v2, v4, vcc
	v_cndmask_b32_e32 v3, v3, v5, vcc
	v_cmp_gt_u32_e32 vcc, 48, v6
	v_cndmask_b32_e64 v4, 0, 1, vcc
	v_lshlrev_b32_e32 v4, 4, v4
	v_add_lshl_u32 v5, v4, v1, 2
	ds_bpermute_b32 v4, v5, v2
	ds_bpermute_b32 v5, v5, v3
	v_cmp_lt_u32_e32 vcc, v8, v7
	s_waitcnt lgkmcnt(0)
	v_add_f64 v[4:5], v[2:3], v[4:5]
	v_cndmask_b32_e32 v2, v2, v4, vcc
	v_cndmask_b32_e64 v4, 0, 1, s[0:1]
	v_lshlrev_b32_e32 v4, 5, v4
	v_add_lshl_u32 v6, v4, v1, 2
	v_cndmask_b32_e32 v3, v3, v5, vcc
	ds_bpermute_b32 v4, v6, v2
	ds_bpermute_b32 v5, v6, v3
	v_add_u32_e32 v6, 32, v1
	v_cmp_lt_u32_e32 vcc, v6, v7
	s_waitcnt lgkmcnt(0)
	v_add_f64 v[4:5], v[2:3], v[4:5]
	v_cndmask_b32_e32 v3, v3, v5, vcc
	v_cndmask_b32_e32 v2, v2, v4, vcc
	v_cmp_eq_u32_e32 vcc, 0, v1
	s_and_saveexec_b64 s[0:1], vcc
	s_cbranch_execz .LBB8_25
; %bb.24:
	v_lshrrev_b32_e32 v4, 3, v0
	v_and_b32_e32 v4, 24, v4
	ds_write_b64 v4, v[2:3] offset:32
.LBB8_25:
	s_or_b64 exec, exec, s[0:1]
	v_cmp_gt_u32_e32 vcc, 4, v0
	s_waitcnt lgkmcnt(0)
	s_barrier
	s_and_saveexec_b64 s[2:3], vcc
	s_cbranch_execz .LBB8_29
; %bb.26:
	v_lshlrev_b32_e32 v2, 3, v1
	ds_read_b64 v[2:3], v2 offset:32
	v_and_b32_e32 v8, 3, v1
	v_cmp_ne_u32_e32 vcc, 3, v8
	v_addc_co_u32_e32 v4, vcc, 0, v1, vcc
	v_lshlrev_b32_e32 v5, 2, v4
	s_waitcnt lgkmcnt(0)
	ds_bpermute_b32 v4, v5, v2
	ds_bpermute_b32 v5, v5, v3
	s_add_i32 s4, s4, 63
	v_cmp_gt_u32_e64 s[0:1], 2, v8
	s_lshr_b32 s4, s4, 6
	v_add_u32_e32 v6, 1, v8
	v_cndmask_b32_e64 v9, 0, 1, s[0:1]
	s_waitcnt lgkmcnt(0)
	v_add_f64 v[4:5], v[2:3], v[4:5]
	v_cmp_gt_u32_e32 vcc, s4, v6
	v_lshlrev_b32_e32 v9, 1, v9
	v_cndmask_b32_e32 v7, v3, v5, vcc
	v_cndmask_b32_e32 v6, v2, v4, vcc
	v_add_lshl_u32 v1, v9, v1, 2
	ds_bpermute_b32 v6, v1, v6
	ds_bpermute_b32 v7, v1, v7
	s_and_saveexec_b64 s[0:1], vcc
	s_cbranch_execz .LBB8_28
; %bb.27:
	v_add_u32_e32 v1, 2, v8
	s_waitcnt lgkmcnt(0)
	v_add_f64 v[2:3], v[4:5], v[6:7]
	v_cmp_gt_u32_e32 vcc, s4, v1
	v_cndmask_b32_e32 v3, v5, v3, vcc
	v_cndmask_b32_e32 v2, v4, v2, vcc
.LBB8_28:
	s_or_b64 exec, exec, s[0:1]
.LBB8_29:
	s_or_b64 exec, exec, s[2:3]
.LBB8_30:
	v_cmp_eq_u32_e32 vcc, 0, v0
	s_and_saveexec_b64 s[0:1], vcc
	s_cbranch_execnz .LBB8_32
; %bb.31:
	s_endpgm
.LBB8_32:
	s_lshl_b64 s[0:1], s[6:7], 3
	s_add_u32 s0, s20, s0
	s_addc_u32 s1, s21, s1
	s_cmp_eq_u64 s[18:19], 0
	v_add_f64 v[0:1], v[2:3], s[22:23]
	v_mov_b32_e32 v2, s23
	s_cselect_b64 vcc, -1, 0
	v_cndmask_b32_e32 v1, v1, v2, vcc
	v_mov_b32_e32 v2, s22
	v_mov_b32_e32 v4, 0
	v_cndmask_b32_e32 v0, v0, v2, vcc
	global_store_dwordx2 v4, v[0:1], s[0:1]
	s_endpgm
	.section	.rodata,"a",@progbits
	.p2align	6, 0x0
	.amdhsa_kernel _ZN7rocprim6detail19block_reduce_kernelILb1ELb0ELj2ENS0_21wrapped_reduce_configINS_14default_configEdEEdPdS5_dNS_4plusIdEEEEvT4_mT5_T6_T7_
		.amdhsa_group_segment_fixed_size 64
		.amdhsa_private_segment_fixed_size 0
		.amdhsa_kernarg_size 36
		.amdhsa_user_sgpr_count 6
		.amdhsa_user_sgpr_private_segment_buffer 1
		.amdhsa_user_sgpr_dispatch_ptr 0
		.amdhsa_user_sgpr_queue_ptr 0
		.amdhsa_user_sgpr_kernarg_segment_ptr 1
		.amdhsa_user_sgpr_dispatch_id 0
		.amdhsa_user_sgpr_flat_scratch_init 0
		.amdhsa_user_sgpr_kernarg_preload_length 0
		.amdhsa_user_sgpr_kernarg_preload_offset 0
		.amdhsa_user_sgpr_private_segment_size 0
		.amdhsa_uses_dynamic_stack 0
		.amdhsa_system_sgpr_private_segment_wavefront_offset 0
		.amdhsa_system_sgpr_workgroup_id_x 1
		.amdhsa_system_sgpr_workgroup_id_y 0
		.amdhsa_system_sgpr_workgroup_id_z 0
		.amdhsa_system_sgpr_workgroup_info 0
		.amdhsa_system_vgpr_workitem_id 0
		.amdhsa_next_free_vgpr 24
		.amdhsa_next_free_sgpr 25
		.amdhsa_accum_offset 24
		.amdhsa_reserve_vcc 1
		.amdhsa_reserve_flat_scratch 0
		.amdhsa_float_round_mode_32 0
		.amdhsa_float_round_mode_16_64 0
		.amdhsa_float_denorm_mode_32 3
		.amdhsa_float_denorm_mode_16_64 3
		.amdhsa_dx10_clamp 1
		.amdhsa_ieee_mode 1
		.amdhsa_fp16_overflow 0
		.amdhsa_tg_split 0
		.amdhsa_exception_fp_ieee_invalid_op 0
		.amdhsa_exception_fp_denorm_src 0
		.amdhsa_exception_fp_ieee_div_zero 0
		.amdhsa_exception_fp_ieee_overflow 0
		.amdhsa_exception_fp_ieee_underflow 0
		.amdhsa_exception_fp_ieee_inexact 0
		.amdhsa_exception_int_div_zero 0
	.end_amdhsa_kernel
	.section	.text._ZN7rocprim6detail19block_reduce_kernelILb1ELb0ELj2ENS0_21wrapped_reduce_configINS_14default_configEdEEdPdS5_dNS_4plusIdEEEEvT4_mT5_T6_T7_,"axG",@progbits,_ZN7rocprim6detail19block_reduce_kernelILb1ELb0ELj2ENS0_21wrapped_reduce_configINS_14default_configEdEEdPdS5_dNS_4plusIdEEEEvT4_mT5_T6_T7_,comdat
.Lfunc_end8:
	.size	_ZN7rocprim6detail19block_reduce_kernelILb1ELb0ELj2ENS0_21wrapped_reduce_configINS_14default_configEdEEdPdS5_dNS_4plusIdEEEEvT4_mT5_T6_T7_, .Lfunc_end8-_ZN7rocprim6detail19block_reduce_kernelILb1ELb0ELj2ENS0_21wrapped_reduce_configINS_14default_configEdEEdPdS5_dNS_4plusIdEEEEvT4_mT5_T6_T7_
                                        ; -- End function
	.section	.AMDGPU.csdata,"",@progbits
; Kernel info:
; codeLenInByte = 1900
; NumSgprs: 29
; NumVgprs: 24
; NumAgprs: 0
; TotalNumVgprs: 24
; ScratchSize: 0
; MemoryBound: 1
; FloatMode: 240
; IeeeMode: 1
; LDSByteSize: 64 bytes/workgroup (compile time only)
; SGPRBlocks: 3
; VGPRBlocks: 2
; NumSGPRsForWavesPerEU: 29
; NumVGPRsForWavesPerEU: 24
; AccumOffset: 24
; Occupancy: 8
; WaveLimiterHint : 1
; COMPUTE_PGM_RSRC2:SCRATCH_EN: 0
; COMPUTE_PGM_RSRC2:USER_SGPR: 6
; COMPUTE_PGM_RSRC2:TRAP_HANDLER: 0
; COMPUTE_PGM_RSRC2:TGID_X_EN: 1
; COMPUTE_PGM_RSRC2:TGID_Y_EN: 0
; COMPUTE_PGM_RSRC2:TGID_Z_EN: 0
; COMPUTE_PGM_RSRC2:TIDIG_COMP_CNT: 0
; COMPUTE_PGM_RSRC3_GFX90A:ACCUM_OFFSET: 5
; COMPUTE_PGM_RSRC3_GFX90A:TG_SPLIT: 0
	.section	.text._ZN7rocprim6detail19block_reduce_kernelILb1ELb0ELj1ENS0_21wrapped_reduce_configINS_14default_configEdEEdPdS5_dNS_4plusIdEEEEvT4_mT5_T6_T7_,"axG",@progbits,_ZN7rocprim6detail19block_reduce_kernelILb1ELb0ELj1ENS0_21wrapped_reduce_configINS_14default_configEdEEdPdS5_dNS_4plusIdEEEEvT4_mT5_T6_T7_,comdat
	.protected	_ZN7rocprim6detail19block_reduce_kernelILb1ELb0ELj1ENS0_21wrapped_reduce_configINS_14default_configEdEEdPdS5_dNS_4plusIdEEEEvT4_mT5_T6_T7_ ; -- Begin function _ZN7rocprim6detail19block_reduce_kernelILb1ELb0ELj1ENS0_21wrapped_reduce_configINS_14default_configEdEEdPdS5_dNS_4plusIdEEEEvT4_mT5_T6_T7_
	.globl	_ZN7rocprim6detail19block_reduce_kernelILb1ELb0ELj1ENS0_21wrapped_reduce_configINS_14default_configEdEEdPdS5_dNS_4plusIdEEEEvT4_mT5_T6_T7_
	.p2align	8
	.type	_ZN7rocprim6detail19block_reduce_kernelILb1ELb0ELj1ENS0_21wrapped_reduce_configINS_14default_configEdEEdPdS5_dNS_4plusIdEEEEvT4_mT5_T6_T7_,@function
_ZN7rocprim6detail19block_reduce_kernelILb1ELb0ELj1ENS0_21wrapped_reduce_configINS_14default_configEdEEdPdS5_dNS_4plusIdEEEEvT4_mT5_T6_T7_: ; @_ZN7rocprim6detail19block_reduce_kernelILb1ELb0ELj1ENS0_21wrapped_reduce_configINS_14default_configEdEEdPdS5_dNS_4plusIdEEEEvT4_mT5_T6_T7_
; %bb.0:
	s_load_dwordx8 s[36:43], s[4:5], 0x0
	s_lshl_b32 s0, s6, 12
	s_mov_b32 s1, 0
	s_lshl_b64 s[4:5], s[0:1], 3
	s_mov_b32 s7, s1
	s_waitcnt lgkmcnt(0)
	s_lshr_b64 s[2:3], s[38:39], 12
	s_add_u32 s1, s36, s4
	s_addc_u32 s4, s37, s5
	v_lshlrev_b32_e32 v1, 3, v0
	v_mov_b32_e32 v2, s4
	v_add_co_u32_e32 v34, vcc, s1, v1
	s_cmp_lg_u64 s[2:3], s[6:7]
	v_addc_co_u32_e32 v35, vcc, 0, v2, vcc
	v_mbcnt_lo_u32_b32 v1, -1, 0
	s_cbranch_scc0 .LBB9_6
; %bb.1:
	v_add_co_u32_e32 v2, vcc, 0x1000, v34
	v_addc_co_u32_e32 v3, vcc, 0, v35, vcc
	global_load_dwordx2 v[6:7], v[34:35], off
	global_load_dwordx2 v[8:9], v[34:35], off offset:2048
	global_load_dwordx2 v[10:11], v[2:3], off
	global_load_dwordx2 v[12:13], v[2:3], off offset:2048
	v_add_co_u32_e32 v2, vcc, 0x2000, v34
	v_addc_co_u32_e32 v3, vcc, 0, v35, vcc
	v_add_co_u32_e32 v4, vcc, 0x3000, v34
	v_addc_co_u32_e32 v5, vcc, 0, v35, vcc
	global_load_dwordx2 v[14:15], v[2:3], off
	global_load_dwordx2 v[16:17], v[2:3], off offset:2048
	global_load_dwordx2 v[18:19], v[4:5], off
	global_load_dwordx2 v[20:21], v[4:5], off offset:2048
	v_add_co_u32_e32 v2, vcc, 0x4000, v34
	v_addc_co_u32_e32 v3, vcc, 0, v35, vcc
	;; [unrolled: 8-line block ×3, first 2 shown]
	v_add_co_u32_e32 v4, vcc, 0x7000, v34
	v_addc_co_u32_e32 v5, vcc, 0, v35, vcc
	global_load_dwordx2 v[30:31], v[2:3], off
	global_load_dwordx2 v[32:33], v[2:3], off offset:2048
	global_load_dwordx2 v[36:37], v[4:5], off
	global_load_dwordx2 v[38:39], v[4:5], off offset:2048
	v_mbcnt_hi_u32_b32 v4, -1, v1
	v_bfrev_b32_e32 v2, 0.5
	v_lshl_or_b32 v5, v4, 2, v2
	v_cmp_eq_u32_e32 vcc, 0, v4
	s_waitcnt vmcnt(14)
	v_add_f64 v[2:3], v[6:7], v[8:9]
	s_waitcnt vmcnt(13)
	v_add_f64 v[2:3], v[2:3], v[10:11]
	;; [unrolled: 2-line block ×15, first 2 shown]
	s_nop 1
	v_mov_b32_dpp v6, v2 quad_perm:[1,0,3,2] row_mask:0xf bank_mask:0xf
	v_mov_b32_dpp v7, v3 quad_perm:[1,0,3,2] row_mask:0xf bank_mask:0xf
	v_add_f64 v[2:3], v[2:3], v[6:7]
	s_nop 1
	v_mov_b32_dpp v6, v2 quad_perm:[2,3,0,1] row_mask:0xf bank_mask:0xf
	v_mov_b32_dpp v7, v3 quad_perm:[2,3,0,1] row_mask:0xf bank_mask:0xf
	v_add_f64 v[2:3], v[2:3], v[6:7]
	s_nop 1
	v_mov_b32_dpp v6, v2 row_ror:4 row_mask:0xf bank_mask:0xf
	v_mov_b32_dpp v7, v3 row_ror:4 row_mask:0xf bank_mask:0xf
	v_add_f64 v[2:3], v[2:3], v[6:7]
	s_nop 1
	v_mov_b32_dpp v6, v2 row_ror:8 row_mask:0xf bank_mask:0xf
	v_mov_b32_dpp v7, v3 row_ror:8 row_mask:0xf bank_mask:0xf
	v_add_f64 v[2:3], v[2:3], v[6:7]
	s_nop 1
	v_mov_b32_dpp v6, v2 row_bcast:15 row_mask:0xf bank_mask:0xf
	v_mov_b32_dpp v7, v3 row_bcast:15 row_mask:0xf bank_mask:0xf
	v_add_f64 v[2:3], v[2:3], v[6:7]
	s_nop 1
	v_mov_b32_dpp v6, v2 row_bcast:31 row_mask:0xf bank_mask:0xf
	v_mov_b32_dpp v7, v3 row_bcast:31 row_mask:0xf bank_mask:0xf
	v_add_f64 v[2:3], v[2:3], v[6:7]
	ds_bpermute_b32 v2, v5, v2
	ds_bpermute_b32 v3, v5, v3
	s_and_saveexec_b64 s[2:3], vcc
	s_cbranch_execz .LBB9_3
; %bb.2:
	v_lshrrev_b32_e32 v5, 3, v0
	v_and_b32_e32 v5, 24, v5
	s_waitcnt lgkmcnt(0)
	ds_write_b64 v5, v[2:3]
.LBB9_3:
	s_or_b64 exec, exec, s[2:3]
	v_cmp_gt_u32_e32 vcc, 64, v0
	s_waitcnt lgkmcnt(0)
	s_barrier
	s_and_saveexec_b64 s[2:3], vcc
	s_cbranch_execz .LBB9_5
; %bb.4:
	v_and_b32_e32 v5, 3, v4
	v_lshlrev_b32_e32 v2, 3, v5
	ds_read_b64 v[2:3], v2
	v_cmp_ne_u32_e32 vcc, 3, v5
	v_addc_co_u32_e32 v6, vcc, 0, v4, vcc
	v_lshlrev_b32_e32 v7, 2, v6
	s_waitcnt lgkmcnt(0)
	ds_bpermute_b32 v6, v7, v2
	ds_bpermute_b32 v7, v7, v3
	v_cmp_gt_u32_e32 vcc, 2, v5
	v_cndmask_b32_e64 v5, 0, 1, vcc
	v_lshlrev_b32_e32 v5, 1, v5
	v_add_lshl_u32 v5, v5, v4, 2
	s_waitcnt lgkmcnt(0)
	v_add_f64 v[2:3], v[2:3], v[6:7]
	ds_bpermute_b32 v4, v5, v2
	ds_bpermute_b32 v5, v5, v3
	s_waitcnt lgkmcnt(0)
	v_add_f64 v[2:3], v[2:3], v[4:5]
.LBB9_5:
	s_or_b64 exec, exec, s[2:3]
	s_branch .LBB9_46
.LBB9_6:
                                        ; implicit-def: $vgpr2_vgpr3
	s_cbranch_execz .LBB9_46
; %bb.7:
	s_sub_i32 s33, s38, s0
	v_cmp_gt_u32_e32 vcc, s33, v0
                                        ; implicit-def: $vgpr2_vgpr3_vgpr4_vgpr5_vgpr6_vgpr7_vgpr8_vgpr9_vgpr10_vgpr11_vgpr12_vgpr13_vgpr14_vgpr15_vgpr16_vgpr17_vgpr18_vgpr19_vgpr20_vgpr21_vgpr22_vgpr23_vgpr24_vgpr25_vgpr26_vgpr27_vgpr28_vgpr29_vgpr30_vgpr31_vgpr32_vgpr33
	s_and_saveexec_b64 s[0:1], vcc
	s_cbranch_execz .LBB9_9
; %bb.8:
	global_load_dwordx2 v[2:3], v[34:35], off
.LBB9_9:
	s_or_b64 exec, exec, s[0:1]
	v_or_b32_e32 v36, 0x100, v0
	v_cmp_gt_u32_e64 s[0:1], s33, v36
	s_and_saveexec_b64 s[2:3], s[0:1]
	s_cbranch_execz .LBB9_11
; %bb.10:
	global_load_dwordx2 v[4:5], v[34:35], off offset:2048
.LBB9_11:
	s_or_b64 exec, exec, s[2:3]
	v_or_b32_e32 v36, 0x200, v0
	v_cmp_gt_u32_e64 s[2:3], s33, v36
	s_and_saveexec_b64 s[4:5], s[2:3]
	s_cbranch_execz .LBB9_13
; %bb.12:
	v_add_co_u32_e32 v6, vcc, 0x1000, v34
	v_addc_co_u32_e32 v7, vcc, 0, v35, vcc
	global_load_dwordx2 v[6:7], v[6:7], off
.LBB9_13:
	s_or_b64 exec, exec, s[4:5]
	v_or_b32_e32 v36, 0x300, v0
	v_cmp_gt_u32_e64 s[4:5], s33, v36
	s_and_saveexec_b64 s[8:9], s[4:5]
	s_cbranch_execz .LBB9_15
; %bb.14:
	v_add_co_u32_e32 v8, vcc, 0x1000, v34
	v_addc_co_u32_e32 v9, vcc, 0, v35, vcc
	global_load_dwordx2 v[8:9], v[8:9], off offset:2048
.LBB9_15:
	s_or_b64 exec, exec, s[8:9]
	v_or_b32_e32 v36, 0x400, v0
	v_cmp_gt_u32_e64 s[8:9], s33, v36
	s_and_saveexec_b64 s[10:11], s[8:9]
	s_cbranch_execz .LBB9_17
; %bb.16:
	v_add_co_u32_e32 v10, vcc, 0x2000, v34
	v_addc_co_u32_e32 v11, vcc, 0, v35, vcc
	global_load_dwordx2 v[10:11], v[10:11], off
.LBB9_17:
	s_or_b64 exec, exec, s[10:11]
	v_or_b32_e32 v36, 0x500, v0
	v_cmp_gt_u32_e64 s[10:11], s33, v36
	s_and_saveexec_b64 s[12:13], s[10:11]
	s_cbranch_execz .LBB9_19
; %bb.18:
	v_add_co_u32_e32 v12, vcc, 0x2000, v34
	v_addc_co_u32_e32 v13, vcc, 0, v35, vcc
	global_load_dwordx2 v[12:13], v[12:13], off offset:2048
.LBB9_19:
	;; [unrolled: 20-line block ×7, first 2 shown]
	s_or_b64 exec, exec, s[34:35]
	s_waitcnt vmcnt(0)
	v_add_f64 v[4:5], v[2:3], v[4:5]
	v_cndmask_b32_e64 v3, v3, v5, s[0:1]
	v_cndmask_b32_e64 v2, v2, v4, s[0:1]
	v_add_f64 v[4:5], v[6:7], v[2:3]
	v_cndmask_b32_e64 v3, v3, v5, s[2:3]
	v_cndmask_b32_e64 v2, v2, v4, s[2:3]
	;; [unrolled: 3-line block ×13, first 2 shown]
	v_add_f64 v[4:5], v[30:31], v[2:3]
	v_mbcnt_hi_u32_b32 v1, -1, v1
	v_cndmask_b32_e64 v3, v3, v5, s[28:29]
	v_cndmask_b32_e64 v2, v2, v4, s[28:29]
	v_and_b32_e32 v6, 63, v1
	v_add_f64 v[4:5], v[32:33], v[2:3]
	v_cmp_ne_u32_e32 vcc, 63, v6
	v_cndmask_b32_e64 v2, v2, v4, s[30:31]
	v_addc_co_u32_e32 v4, vcc, 0, v1, vcc
	v_cndmask_b32_e64 v3, v3, v5, s[30:31]
	v_lshlrev_b32_e32 v5, 2, v4
	ds_bpermute_b32 v4, v5, v2
	ds_bpermute_b32 v5, v5, v3
	s_min_u32 s4, s33, 0x100
	v_and_b32_e32 v7, 0xc0, v0
	v_sub_u32_e64 v7, s4, v7 clamp
	v_add_u32_e32 v8, 1, v1
	s_waitcnt lgkmcnt(0)
	v_add_f64 v[4:5], v[2:3], v[4:5]
	v_cmp_lt_u32_e32 vcc, v8, v7
	v_cndmask_b32_e32 v2, v2, v4, vcc
	v_cndmask_b32_e32 v3, v3, v5, vcc
	v_cmp_gt_u32_e32 vcc, 62, v6
	v_cndmask_b32_e64 v4, 0, 1, vcc
	v_lshlrev_b32_e32 v4, 1, v4
	v_add_lshl_u32 v5, v4, v1, 2
	ds_bpermute_b32 v4, v5, v2
	ds_bpermute_b32 v5, v5, v3
	v_add_u32_e32 v8, 2, v1
	v_cmp_lt_u32_e32 vcc, v8, v7
	v_add_u32_e32 v8, 4, v1
	v_cmp_gt_u32_e64 s[0:1], 32, v6
	s_waitcnt lgkmcnt(0)
	v_add_f64 v[4:5], v[2:3], v[4:5]
	v_cndmask_b32_e32 v2, v2, v4, vcc
	v_cndmask_b32_e32 v3, v3, v5, vcc
	v_cmp_gt_u32_e32 vcc, 60, v6
	v_cndmask_b32_e64 v4, 0, 1, vcc
	v_lshlrev_b32_e32 v4, 2, v4
	v_add_lshl_u32 v5, v4, v1, 2
	ds_bpermute_b32 v4, v5, v2
	ds_bpermute_b32 v5, v5, v3
	v_cmp_lt_u32_e32 vcc, v8, v7
	v_add_u32_e32 v8, 8, v1
	s_waitcnt lgkmcnt(0)
	v_add_f64 v[4:5], v[2:3], v[4:5]
	v_cndmask_b32_e32 v2, v2, v4, vcc
	v_cndmask_b32_e32 v3, v3, v5, vcc
	v_cmp_gt_u32_e32 vcc, 56, v6
	v_cndmask_b32_e64 v4, 0, 1, vcc
	v_lshlrev_b32_e32 v4, 3, v4
	v_add_lshl_u32 v5, v4, v1, 2
	ds_bpermute_b32 v4, v5, v2
	ds_bpermute_b32 v5, v5, v3
	v_cmp_lt_u32_e32 vcc, v8, v7
	v_add_u32_e32 v8, 16, v1
	s_waitcnt lgkmcnt(0)
	v_add_f64 v[4:5], v[2:3], v[4:5]
	v_cndmask_b32_e32 v2, v2, v4, vcc
	v_cndmask_b32_e32 v3, v3, v5, vcc
	v_cmp_gt_u32_e32 vcc, 48, v6
	v_cndmask_b32_e64 v4, 0, 1, vcc
	v_lshlrev_b32_e32 v4, 4, v4
	v_add_lshl_u32 v5, v4, v1, 2
	ds_bpermute_b32 v4, v5, v2
	ds_bpermute_b32 v5, v5, v3
	v_cmp_lt_u32_e32 vcc, v8, v7
	s_waitcnt lgkmcnt(0)
	v_add_f64 v[4:5], v[2:3], v[4:5]
	v_cndmask_b32_e32 v2, v2, v4, vcc
	v_cndmask_b32_e64 v4, 0, 1, s[0:1]
	v_lshlrev_b32_e32 v4, 5, v4
	v_add_lshl_u32 v6, v4, v1, 2
	v_cndmask_b32_e32 v3, v3, v5, vcc
	ds_bpermute_b32 v4, v6, v2
	ds_bpermute_b32 v5, v6, v3
	v_add_u32_e32 v6, 32, v1
	v_cmp_lt_u32_e32 vcc, v6, v7
	s_waitcnt lgkmcnt(0)
	v_add_f64 v[4:5], v[2:3], v[4:5]
	v_cndmask_b32_e32 v3, v3, v5, vcc
	v_cndmask_b32_e32 v2, v2, v4, vcc
	v_cmp_eq_u32_e32 vcc, 0, v1
	s_and_saveexec_b64 s[0:1], vcc
	s_cbranch_execz .LBB9_41
; %bb.40:
	v_lshrrev_b32_e32 v4, 3, v0
	v_and_b32_e32 v4, 24, v4
	ds_write_b64 v4, v[2:3] offset:32
.LBB9_41:
	s_or_b64 exec, exec, s[0:1]
	v_cmp_gt_u32_e32 vcc, 4, v0
	s_waitcnt lgkmcnt(0)
	s_barrier
	s_and_saveexec_b64 s[2:3], vcc
	s_cbranch_execz .LBB9_45
; %bb.42:
	v_lshlrev_b32_e32 v2, 3, v1
	ds_read_b64 v[2:3], v2 offset:32
	v_and_b32_e32 v8, 3, v1
	v_cmp_ne_u32_e32 vcc, 3, v8
	v_addc_co_u32_e32 v4, vcc, 0, v1, vcc
	v_lshlrev_b32_e32 v5, 2, v4
	s_waitcnt lgkmcnt(0)
	ds_bpermute_b32 v4, v5, v2
	ds_bpermute_b32 v5, v5, v3
	s_add_i32 s4, s4, 63
	v_cmp_gt_u32_e64 s[0:1], 2, v8
	s_lshr_b32 s4, s4, 6
	v_add_u32_e32 v6, 1, v8
	v_cndmask_b32_e64 v9, 0, 1, s[0:1]
	s_waitcnt lgkmcnt(0)
	v_add_f64 v[4:5], v[2:3], v[4:5]
	v_cmp_gt_u32_e32 vcc, s4, v6
	v_lshlrev_b32_e32 v9, 1, v9
	v_cndmask_b32_e32 v7, v3, v5, vcc
	v_cndmask_b32_e32 v6, v2, v4, vcc
	v_add_lshl_u32 v1, v9, v1, 2
	ds_bpermute_b32 v6, v1, v6
	ds_bpermute_b32 v7, v1, v7
	s_and_saveexec_b64 s[0:1], vcc
	s_cbranch_execz .LBB9_44
; %bb.43:
	v_add_u32_e32 v1, 2, v8
	s_waitcnt lgkmcnt(0)
	v_add_f64 v[2:3], v[4:5], v[6:7]
	v_cmp_gt_u32_e32 vcc, s4, v1
	v_cndmask_b32_e32 v3, v5, v3, vcc
	v_cndmask_b32_e32 v2, v4, v2, vcc
.LBB9_44:
	s_or_b64 exec, exec, s[0:1]
.LBB9_45:
	s_or_b64 exec, exec, s[2:3]
.LBB9_46:
	v_cmp_eq_u32_e32 vcc, 0, v0
	s_and_saveexec_b64 s[0:1], vcc
	s_cbranch_execnz .LBB9_48
; %bb.47:
	s_endpgm
.LBB9_48:
	s_lshl_b64 s[0:1], s[6:7], 3
	s_add_u32 s0, s40, s0
	s_addc_u32 s1, s41, s1
	s_cmp_eq_u64 s[38:39], 0
	v_add_f64 v[0:1], v[2:3], s[42:43]
	v_mov_b32_e32 v2, s43
	s_cselect_b64 vcc, -1, 0
	v_cndmask_b32_e32 v1, v1, v2, vcc
	v_mov_b32_e32 v2, s42
	v_mov_b32_e32 v4, 0
	v_cndmask_b32_e32 v0, v0, v2, vcc
	global_store_dwordx2 v4, v[0:1], s[0:1]
	s_endpgm
	.section	.rodata,"a",@progbits
	.p2align	6, 0x0
	.amdhsa_kernel _ZN7rocprim6detail19block_reduce_kernelILb1ELb0ELj1ENS0_21wrapped_reduce_configINS_14default_configEdEEdPdS5_dNS_4plusIdEEEEvT4_mT5_T6_T7_
		.amdhsa_group_segment_fixed_size 64
		.amdhsa_private_segment_fixed_size 0
		.amdhsa_kernarg_size 36
		.amdhsa_user_sgpr_count 6
		.amdhsa_user_sgpr_private_segment_buffer 1
		.amdhsa_user_sgpr_dispatch_ptr 0
		.amdhsa_user_sgpr_queue_ptr 0
		.amdhsa_user_sgpr_kernarg_segment_ptr 1
		.amdhsa_user_sgpr_dispatch_id 0
		.amdhsa_user_sgpr_flat_scratch_init 0
		.amdhsa_user_sgpr_kernarg_preload_length 0
		.amdhsa_user_sgpr_kernarg_preload_offset 0
		.amdhsa_user_sgpr_private_segment_size 0
		.amdhsa_uses_dynamic_stack 0
		.amdhsa_system_sgpr_private_segment_wavefront_offset 0
		.amdhsa_system_sgpr_workgroup_id_x 1
		.amdhsa_system_sgpr_workgroup_id_y 0
		.amdhsa_system_sgpr_workgroup_id_z 0
		.amdhsa_system_sgpr_workgroup_info 0
		.amdhsa_system_vgpr_workitem_id 0
		.amdhsa_next_free_vgpr 40
		.amdhsa_next_free_sgpr 44
		.amdhsa_accum_offset 40
		.amdhsa_reserve_vcc 1
		.amdhsa_reserve_flat_scratch 0
		.amdhsa_float_round_mode_32 0
		.amdhsa_float_round_mode_16_64 0
		.amdhsa_float_denorm_mode_32 3
		.amdhsa_float_denorm_mode_16_64 3
		.amdhsa_dx10_clamp 1
		.amdhsa_ieee_mode 1
		.amdhsa_fp16_overflow 0
		.amdhsa_tg_split 0
		.amdhsa_exception_fp_ieee_invalid_op 0
		.amdhsa_exception_fp_denorm_src 0
		.amdhsa_exception_fp_ieee_div_zero 0
		.amdhsa_exception_fp_ieee_overflow 0
		.amdhsa_exception_fp_ieee_underflow 0
		.amdhsa_exception_fp_ieee_inexact 0
		.amdhsa_exception_int_div_zero 0
	.end_amdhsa_kernel
	.section	.text._ZN7rocprim6detail19block_reduce_kernelILb1ELb0ELj1ENS0_21wrapped_reduce_configINS_14default_configEdEEdPdS5_dNS_4plusIdEEEEvT4_mT5_T6_T7_,"axG",@progbits,_ZN7rocprim6detail19block_reduce_kernelILb1ELb0ELj1ENS0_21wrapped_reduce_configINS_14default_configEdEEdPdS5_dNS_4plusIdEEEEvT4_mT5_T6_T7_,comdat
.Lfunc_end9:
	.size	_ZN7rocprim6detail19block_reduce_kernelILb1ELb0ELj1ENS0_21wrapped_reduce_configINS_14default_configEdEEdPdS5_dNS_4plusIdEEEEvT4_mT5_T6_T7_, .Lfunc_end9-_ZN7rocprim6detail19block_reduce_kernelILb1ELb0ELj1ENS0_21wrapped_reduce_configINS_14default_configEdEEdPdS5_dNS_4plusIdEEEEvT4_mT5_T6_T7_
                                        ; -- End function
	.section	.AMDGPU.csdata,"",@progbits
; Kernel info:
; codeLenInByte = 2684
; NumSgprs: 48
; NumVgprs: 40
; NumAgprs: 0
; TotalNumVgprs: 40
; ScratchSize: 0
; MemoryBound: 1
; FloatMode: 240
; IeeeMode: 1
; LDSByteSize: 64 bytes/workgroup (compile time only)
; SGPRBlocks: 5
; VGPRBlocks: 4
; NumSGPRsForWavesPerEU: 48
; NumVGPRsForWavesPerEU: 40
; AccumOffset: 40
; Occupancy: 8
; WaveLimiterHint : 1
; COMPUTE_PGM_RSRC2:SCRATCH_EN: 0
; COMPUTE_PGM_RSRC2:USER_SGPR: 6
; COMPUTE_PGM_RSRC2:TRAP_HANDLER: 0
; COMPUTE_PGM_RSRC2:TGID_X_EN: 1
; COMPUTE_PGM_RSRC2:TGID_Y_EN: 0
; COMPUTE_PGM_RSRC2:TGID_Z_EN: 0
; COMPUTE_PGM_RSRC2:TIDIG_COMP_CNT: 0
; COMPUTE_PGM_RSRC3_GFX90A:ACCUM_OFFSET: 9
; COMPUTE_PGM_RSRC3_GFX90A:TG_SPLIT: 0
	.section	.text._ZN8rajaperf9algorithm10reduce_sumILm256EEEvPdS2_dl,"axG",@progbits,_ZN8rajaperf9algorithm10reduce_sumILm256EEEvPdS2_dl,comdat
	.protected	_ZN8rajaperf9algorithm10reduce_sumILm256EEEvPdS2_dl ; -- Begin function _ZN8rajaperf9algorithm10reduce_sumILm256EEEvPdS2_dl
	.globl	_ZN8rajaperf9algorithm10reduce_sumILm256EEEvPdS2_dl
	.p2align	8
	.type	_ZN8rajaperf9algorithm10reduce_sumILm256EEEvPdS2_dl,@function
_ZN8rajaperf9algorithm10reduce_sumILm256EEEvPdS2_dl: ; @_ZN8rajaperf9algorithm10reduce_sumILm256EEEvPdS2_dl
; %bb.0:
	s_load_dwordx8 s[8:15], s[4:5], 0x0
	s_mov_b32 s7, 0
	s_lshl_b64 s[0:1], s[6:7], 8
	v_or_b32_e32 v2, s0, v0
	v_mov_b32_e32 v3, s1
	v_lshl_add_u32 v1, v0, 3, 0
	s_waitcnt lgkmcnt(0)
	v_pk_mov_b32 v[4:5], s[12:13], s[12:13] op_sel:[0,1]
	v_cmp_gt_i64_e32 vcc, s[14:15], v[2:3]
	ds_write_b64 v1, v[4:5]
	s_and_saveexec_b64 s[0:1], vcc
	s_cbranch_execz .LBB10_4
; %bb.1:
	s_load_dword s4, s[4:5], 0x20
	s_mov_b32 s5, s7
	s_lshl_b64 s[6:7], s[6:7], 11
	v_lshlrev_b32_e32 v4, 3, v0
	v_pk_mov_b32 v[6:7], s[12:13], s[12:13] op_sel:[0,1]
	s_waitcnt lgkmcnt(0)
	s_lshl_b64 s[2:3], s[4:5], 8
	s_add_u32 s6, s8, s6
	s_addc_u32 s7, s9, s7
	v_mov_b32_e32 v5, s7
	v_add_co_u32_e32 v4, vcc, s6, v4
	s_lshl_b64 s[6:7], s[4:5], 11
	v_addc_co_u32_e32 v5, vcc, 0, v5, vcc
	s_mov_b64 s[4:5], 0
	v_mov_b32_e32 v8, s3
	v_mov_b32_e32 v9, s7
.LBB10_2:                               ; =>This Inner Loop Header: Depth=1
	global_load_dwordx2 v[10:11], v[4:5], off
	v_add_co_u32_e32 v2, vcc, s2, v2
	v_addc_co_u32_e32 v3, vcc, v3, v8, vcc
	v_add_co_u32_e32 v4, vcc, s6, v4
	v_addc_co_u32_e32 v5, vcc, v5, v9, vcc
	v_cmp_le_i64_e32 vcc, s[14:15], v[2:3]
	s_or_b64 s[4:5], vcc, s[4:5]
	s_waitcnt vmcnt(0)
	v_add_f64 v[6:7], v[10:11], v[6:7]
	s_andn2_b64 exec, exec, s[4:5]
	s_cbranch_execnz .LBB10_2
; %bb.3:
	s_or_b64 exec, exec, s[4:5]
	ds_write_b64 v1, v[6:7]
.LBB10_4:
	s_or_b64 exec, exec, s[0:1]
	s_movk_i32 s0, 0x80
	v_cmp_gt_u32_e32 vcc, s0, v0
	s_waitcnt lgkmcnt(0)
	s_barrier
	s_and_saveexec_b64 s[0:1], vcc
	s_cbranch_execz .LBB10_6
; %bb.5:
	ds_read2st64_b64 v[2:5], v1 offset1:2
	s_waitcnt lgkmcnt(0)
	v_add_f64 v[2:3], v[4:5], v[2:3]
	ds_write_b64 v1, v[2:3]
.LBB10_6:
	s_or_b64 exec, exec, s[0:1]
	v_cmp_gt_u32_e32 vcc, 64, v0
	s_waitcnt lgkmcnt(0)
	s_barrier
	s_and_saveexec_b64 s[0:1], vcc
	s_cbranch_execz .LBB10_8
; %bb.7:
	ds_read2st64_b64 v[2:5], v1 offset1:1
	s_waitcnt lgkmcnt(0)
	v_add_f64 v[2:3], v[4:5], v[2:3]
	ds_write_b64 v1, v[2:3]
.LBB10_8:
	s_or_b64 exec, exec, s[0:1]
	v_cmp_gt_u32_e32 vcc, 32, v0
	s_waitcnt lgkmcnt(0)
	s_barrier
	s_and_saveexec_b64 s[0:1], vcc
	s_cbranch_execz .LBB10_10
; %bb.9:
	ds_read2_b64 v[2:5], v1 offset1:32
	s_waitcnt lgkmcnt(0)
	v_add_f64 v[2:3], v[4:5], v[2:3]
	ds_write_b64 v1, v[2:3]
.LBB10_10:
	s_or_b64 exec, exec, s[0:1]
	v_cmp_gt_u32_e32 vcc, 16, v0
	s_waitcnt lgkmcnt(0)
	s_barrier
	s_and_saveexec_b64 s[0:1], vcc
	s_cbranch_execz .LBB10_12
; %bb.11:
	ds_read2_b64 v[2:5], v1 offset1:16
	s_waitcnt lgkmcnt(0)
	v_add_f64 v[2:3], v[4:5], v[2:3]
	ds_write_b64 v1, v[2:3]
.LBB10_12:
	;; [unrolled: 12-line block ×5, first 2 shown]
	s_or_b64 exec, exec, s[0:1]
	v_cmp_eq_u32_e32 vcc, 0, v0
	s_waitcnt lgkmcnt(0)
	s_barrier
	s_and_saveexec_b64 s[0:1], vcc
	s_cbranch_execz .LBB10_20
; %bb.19:
	v_mov_b32_e32 v0, 0
	ds_read_b64 v[2:3], v0 offset:8
	ds_read_b64 v[4:5], v1
	s_waitcnt lgkmcnt(0)
	v_add_f64 v[2:3], v[2:3], v[4:5]
	ds_write_b64 v1, v[2:3]
.LBB10_20:
	s_or_b64 exec, exec, s[0:1]
	s_waitcnt lgkmcnt(0)
	s_barrier
	s_and_saveexec_b64 s[0:1], vcc
	s_cbranch_execz .LBB10_24
; %bb.21:
	s_mov_b64 s[0:1], exec
	v_mbcnt_lo_u32_b32 v0, s0, 0
	v_mbcnt_hi_u32_b32 v0, s1, v0
	v_cmp_eq_u32_e32 vcc, 0, v0
	s_and_b64 s[2:3], exec, vcc
	s_mov_b64 exec, s[2:3]
	s_cbranch_execz .LBB10_24
; %bb.22:
	v_mov_b32_e32 v6, 0
	ds_read_b64 v[0:1], v6
	s_load_dwordx2 s[2:3], s[10:11], 0x0
	s_bcnt1_i32_b64 s4, s[0:1]
	v_cvt_f64_u32_e32 v[2:3], s4
	s_mov_b64 s[0:1], 0
	s_waitcnt lgkmcnt(0)
	v_mul_f64 v[4:5], v[0:1], v[2:3]
	v_pk_mov_b32 v[2:3], s[2:3], s[2:3] op_sel:[0,1]
.LBB10_23:                              ; =>This Inner Loop Header: Depth=1
	v_add_f64 v[0:1], v[2:3], v[4:5]
	global_atomic_cmpswap_x2 v[0:1], v6, v[0:3], s[10:11] glc
	s_waitcnt vmcnt(0)
	v_cmp_eq_u64_e32 vcc, v[0:1], v[2:3]
	s_or_b64 s[0:1], vcc, s[0:1]
	v_pk_mov_b32 v[2:3], v[0:1], v[0:1] op_sel:[0,1]
	s_andn2_b64 exec, exec, s[0:1]
	s_cbranch_execnz .LBB10_23
.LBB10_24:
	s_endpgm
	.section	.rodata,"a",@progbits
	.p2align	6, 0x0
	.amdhsa_kernel _ZN8rajaperf9algorithm10reduce_sumILm256EEEvPdS2_dl
		.amdhsa_group_segment_fixed_size 0
		.amdhsa_private_segment_fixed_size 0
		.amdhsa_kernarg_size 288
		.amdhsa_user_sgpr_count 6
		.amdhsa_user_sgpr_private_segment_buffer 1
		.amdhsa_user_sgpr_dispatch_ptr 0
		.amdhsa_user_sgpr_queue_ptr 0
		.amdhsa_user_sgpr_kernarg_segment_ptr 1
		.amdhsa_user_sgpr_dispatch_id 0
		.amdhsa_user_sgpr_flat_scratch_init 0
		.amdhsa_user_sgpr_kernarg_preload_length 0
		.amdhsa_user_sgpr_kernarg_preload_offset 0
		.amdhsa_user_sgpr_private_segment_size 0
		.amdhsa_uses_dynamic_stack 0
		.amdhsa_system_sgpr_private_segment_wavefront_offset 0
		.amdhsa_system_sgpr_workgroup_id_x 1
		.amdhsa_system_sgpr_workgroup_id_y 0
		.amdhsa_system_sgpr_workgroup_id_z 0
		.amdhsa_system_sgpr_workgroup_info 0
		.amdhsa_system_vgpr_workitem_id 0
		.amdhsa_next_free_vgpr 12
		.amdhsa_next_free_sgpr 16
		.amdhsa_accum_offset 12
		.amdhsa_reserve_vcc 1
		.amdhsa_reserve_flat_scratch 0
		.amdhsa_float_round_mode_32 0
		.amdhsa_float_round_mode_16_64 0
		.amdhsa_float_denorm_mode_32 3
		.amdhsa_float_denorm_mode_16_64 3
		.amdhsa_dx10_clamp 1
		.amdhsa_ieee_mode 1
		.amdhsa_fp16_overflow 0
		.amdhsa_tg_split 0
		.amdhsa_exception_fp_ieee_invalid_op 0
		.amdhsa_exception_fp_denorm_src 0
		.amdhsa_exception_fp_ieee_div_zero 0
		.amdhsa_exception_fp_ieee_overflow 0
		.amdhsa_exception_fp_ieee_underflow 0
		.amdhsa_exception_fp_ieee_inexact 0
		.amdhsa_exception_int_div_zero 0
	.end_amdhsa_kernel
	.section	.text._ZN8rajaperf9algorithm10reduce_sumILm256EEEvPdS2_dl,"axG",@progbits,_ZN8rajaperf9algorithm10reduce_sumILm256EEEvPdS2_dl,comdat
.Lfunc_end10:
	.size	_ZN8rajaperf9algorithm10reduce_sumILm256EEEvPdS2_dl, .Lfunc_end10-_ZN8rajaperf9algorithm10reduce_sumILm256EEEvPdS2_dl
                                        ; -- End function
	.section	.AMDGPU.csdata,"",@progbits
; Kernel info:
; codeLenInByte = 788
; NumSgprs: 20
; NumVgprs: 12
; NumAgprs: 0
; TotalNumVgprs: 12
; ScratchSize: 0
; MemoryBound: 0
; FloatMode: 240
; IeeeMode: 1
; LDSByteSize: 0 bytes/workgroup (compile time only)
; SGPRBlocks: 2
; VGPRBlocks: 1
; NumSGPRsForWavesPerEU: 20
; NumVGPRsForWavesPerEU: 12
; AccumOffset: 12
; Occupancy: 8
; WaveLimiterHint : 0
; COMPUTE_PGM_RSRC2:SCRATCH_EN: 0
; COMPUTE_PGM_RSRC2:USER_SGPR: 6
; COMPUTE_PGM_RSRC2:TRAP_HANDLER: 0
; COMPUTE_PGM_RSRC2:TGID_X_EN: 1
; COMPUTE_PGM_RSRC2:TGID_Y_EN: 0
; COMPUTE_PGM_RSRC2:TGID_Z_EN: 0
; COMPUTE_PGM_RSRC2:TIDIG_COMP_CNT: 0
; COMPUTE_PGM_RSRC3_GFX90A:ACCUM_OFFSET: 2
; COMPUTE_PGM_RSRC3_GFX90A:TG_SPLIT: 0
	.section	.text._ZN4RAJA6policy3hip4impl18forallp_hip_kernelINS1_8hip_execINS_17iteration_mapping6DirectENS_3hip11IndexGlobalILNS_9named_dimE0ELi256ELi0EEENS7_40AvoidDeviceMaxThreadOccupancyConcretizerINS7_34FractionOffsetOccupancyConcretizerINS_8FractionImLm1ELm1EEELln1EEEEELb1EEENS_9Iterators16numeric_iteratorIllPlEEZN8rajaperf9algorithm10REDUCE_SUM17runHipVariantRAJAILm256ENSM_13gpu_algorithm19block_atomic_helperENSM_11gpu_mapping20global_direct_helperEEEvNSM_9VariantIDEEUllE_lNS_4expt15ForallParamPackIJEEES6_SA_TnNSt9enable_ifIXaasr3std10is_base_ofINS5_10DirectBaseET4_EE5valuegtsrT5_10block_sizeLi0EEmE4typeELm256EEEvT1_T0_T2_T3_,"axG",@progbits,_ZN4RAJA6policy3hip4impl18forallp_hip_kernelINS1_8hip_execINS_17iteration_mapping6DirectENS_3hip11IndexGlobalILNS_9named_dimE0ELi256ELi0EEENS7_40AvoidDeviceMaxThreadOccupancyConcretizerINS7_34FractionOffsetOccupancyConcretizerINS_8FractionImLm1ELm1EEELln1EEEEELb1EEENS_9Iterators16numeric_iteratorIllPlEEZN8rajaperf9algorithm10REDUCE_SUM17runHipVariantRAJAILm256ENSM_13gpu_algorithm19block_atomic_helperENSM_11gpu_mapping20global_direct_helperEEEvNSM_9VariantIDEEUllE_lNS_4expt15ForallParamPackIJEEES6_SA_TnNSt9enable_ifIXaasr3std10is_base_ofINS5_10DirectBaseET4_EE5valuegtsrT5_10block_sizeLi0EEmE4typeELm256EEEvT1_T0_T2_T3_,comdat
	.protected	_ZN4RAJA6policy3hip4impl18forallp_hip_kernelINS1_8hip_execINS_17iteration_mapping6DirectENS_3hip11IndexGlobalILNS_9named_dimE0ELi256ELi0EEENS7_40AvoidDeviceMaxThreadOccupancyConcretizerINS7_34FractionOffsetOccupancyConcretizerINS_8FractionImLm1ELm1EEELln1EEEEELb1EEENS_9Iterators16numeric_iteratorIllPlEEZN8rajaperf9algorithm10REDUCE_SUM17runHipVariantRAJAILm256ENSM_13gpu_algorithm19block_atomic_helperENSM_11gpu_mapping20global_direct_helperEEEvNSM_9VariantIDEEUllE_lNS_4expt15ForallParamPackIJEEES6_SA_TnNSt9enable_ifIXaasr3std10is_base_ofINS5_10DirectBaseET4_EE5valuegtsrT5_10block_sizeLi0EEmE4typeELm256EEEvT1_T0_T2_T3_ ; -- Begin function _ZN4RAJA6policy3hip4impl18forallp_hip_kernelINS1_8hip_execINS_17iteration_mapping6DirectENS_3hip11IndexGlobalILNS_9named_dimE0ELi256ELi0EEENS7_40AvoidDeviceMaxThreadOccupancyConcretizerINS7_34FractionOffsetOccupancyConcretizerINS_8FractionImLm1ELm1EEELln1EEEEELb1EEENS_9Iterators16numeric_iteratorIllPlEEZN8rajaperf9algorithm10REDUCE_SUM17runHipVariantRAJAILm256ENSM_13gpu_algorithm19block_atomic_helperENSM_11gpu_mapping20global_direct_helperEEEvNSM_9VariantIDEEUllE_lNS_4expt15ForallParamPackIJEEES6_SA_TnNSt9enable_ifIXaasr3std10is_base_ofINS5_10DirectBaseET4_EE5valuegtsrT5_10block_sizeLi0EEmE4typeELm256EEEvT1_T0_T2_T3_
	.globl	_ZN4RAJA6policy3hip4impl18forallp_hip_kernelINS1_8hip_execINS_17iteration_mapping6DirectENS_3hip11IndexGlobalILNS_9named_dimE0ELi256ELi0EEENS7_40AvoidDeviceMaxThreadOccupancyConcretizerINS7_34FractionOffsetOccupancyConcretizerINS_8FractionImLm1ELm1EEELln1EEEEELb1EEENS_9Iterators16numeric_iteratorIllPlEEZN8rajaperf9algorithm10REDUCE_SUM17runHipVariantRAJAILm256ENSM_13gpu_algorithm19block_atomic_helperENSM_11gpu_mapping20global_direct_helperEEEvNSM_9VariantIDEEUllE_lNS_4expt15ForallParamPackIJEEES6_SA_TnNSt9enable_ifIXaasr3std10is_base_ofINS5_10DirectBaseET4_EE5valuegtsrT5_10block_sizeLi0EEmE4typeELm256EEEvT1_T0_T2_T3_
	.p2align	8
	.type	_ZN4RAJA6policy3hip4impl18forallp_hip_kernelINS1_8hip_execINS_17iteration_mapping6DirectENS_3hip11IndexGlobalILNS_9named_dimE0ELi256ELi0EEENS7_40AvoidDeviceMaxThreadOccupancyConcretizerINS7_34FractionOffsetOccupancyConcretizerINS_8FractionImLm1ELm1EEELln1EEEEELb1EEENS_9Iterators16numeric_iteratorIllPlEEZN8rajaperf9algorithm10REDUCE_SUM17runHipVariantRAJAILm256ENSM_13gpu_algorithm19block_atomic_helperENSM_11gpu_mapping20global_direct_helperEEEvNSM_9VariantIDEEUllE_lNS_4expt15ForallParamPackIJEEES6_SA_TnNSt9enable_ifIXaasr3std10is_base_ofINS5_10DirectBaseET4_EE5valuegtsrT5_10block_sizeLi0EEmE4typeELm256EEEvT1_T0_T2_T3_,@function
_ZN4RAJA6policy3hip4impl18forallp_hip_kernelINS1_8hip_execINS_17iteration_mapping6DirectENS_3hip11IndexGlobalILNS_9named_dimE0ELi256ELi0EEENS7_40AvoidDeviceMaxThreadOccupancyConcretizerINS7_34FractionOffsetOccupancyConcretizerINS_8FractionImLm1ELm1EEELln1EEEEELb1EEENS_9Iterators16numeric_iteratorIllPlEEZN8rajaperf9algorithm10REDUCE_SUM17runHipVariantRAJAILm256ENSM_13gpu_algorithm19block_atomic_helperENSM_11gpu_mapping20global_direct_helperEEEvNSM_9VariantIDEEUllE_lNS_4expt15ForallParamPackIJEEES6_SA_TnNSt9enable_ifIXaasr3std10is_base_ofINS5_10DirectBaseET4_EE5valuegtsrT5_10block_sizeLi0EEmE4typeELm256EEEvT1_T0_T2_T3_: ; @_ZN4RAJA6policy3hip4impl18forallp_hip_kernelINS1_8hip_execINS_17iteration_mapping6DirectENS_3hip11IndexGlobalILNS_9named_dimE0ELi256ELi0EEENS7_40AvoidDeviceMaxThreadOccupancyConcretizerINS7_34FractionOffsetOccupancyConcretizerINS_8FractionImLm1ELm1EEELln1EEEEELb1EEENS_9Iterators16numeric_iteratorIllPlEEZN8rajaperf9algorithm10REDUCE_SUM17runHipVariantRAJAILm256ENSM_13gpu_algorithm19block_atomic_helperENSM_11gpu_mapping20global_direct_helperEEEvNSM_9VariantIDEEUllE_lNS_4expt15ForallParamPackIJEEES6_SA_TnNSt9enable_ifIXaasr3std10is_base_ofINS5_10DirectBaseET4_EE5valuegtsrT5_10block_sizeLi0EEmE4typeELm256EEEvT1_T0_T2_T3_
; %bb.0:
	s_load_dwordx4 s[12:15], s[4:5], 0x0
	s_load_dwordx2 s[2:3], s[4:5], 0x18
	s_load_dwordx4 s[16:19], s[4:5], 0x30
	s_mov_b32 s0, s7
	s_mov_b32 s7, 0
	v_and_b32_e32 v1, 0x3ff, v0
	s_lshl_b64 s[10:11], s[6:7], 8
	v_or_b32_e32 v4, s10, v1
	v_mov_b32_e32 v5, s11
	s_waitcnt lgkmcnt(0)
	v_cmp_gt_i64_e32 vcc, s[18:19], v[4:5]
	v_pk_mov_b32 v[2:3], s[2:3], s[2:3] op_sel:[0,1]
	s_and_saveexec_b64 s[10:11], vcc
	s_cbranch_execz .LBB11_2
; %bb.1:
	s_load_dwordx2 s[18:19], s[4:5], 0x28
	s_lshl_b64 s[16:17], s[16:17], 3
	v_lshlrev_b64 v[2:3], 3, v[4:5]
	s_waitcnt lgkmcnt(0)
	s_add_u32 s1, s16, s18
	s_addc_u32 s7, s17, s19
	v_mov_b32_e32 v4, s7
	v_add_co_u32_e32 v2, vcc, s1, v2
	v_addc_co_u32_e32 v3, vcc, v4, v3, vcc
	global_load_dwordx2 v[2:3], v[2:3], off
	s_waitcnt vmcnt(0)
	v_add_f64 v[2:3], s[2:3], v[2:3]
.LBB11_2:
	s_or_b64 exec, exec, s[10:11]
	s_cmp_lg_u64 s[12:13], 0
	s_cbranch_scc1 .LBB11_17
; %bb.3:
	s_load_dwordx2 s[10:11], s[4:5], 0x48
	s_add_u32 s1, s4, 0x48
	v_mov_b32_e32 v4, 0
	global_load_dword v5, v4, s[4:5] offset:86
	s_addc_u32 s7, s5, 0
	s_waitcnt lgkmcnt(0)
	s_cmp_lt_u32 s6, s10
	s_cselect_b32 s4, 12, 18
	s_add_u32 s4, s1, s4
	s_addc_u32 s5, s7, 0
	global_load_ushort v4, v4, s[4:5]
	v_bfe_u32 v6, v0, 10, 10
	v_bfe_u32 v0, v0, 20, 10
	s_mov_b32 s13, 0
	s_waitcnt vmcnt(1)
	v_readfirstlane_b32 s1, v5
	s_lshr_b32 s4, s1, 16
	s_and_b32 s1, s1, 0xffff
	s_waitcnt vmcnt(0)
	v_readfirstlane_b32 s5, v4
	s_mul_i32 s1, s1, s5
	v_mad_u32_u24 v6, v6, v4, v1
	v_mul_lo_u32 v7, s1, v0
	s_mul_i32 s4, s1, s4
	v_add_u32_e32 v1, v7, v6
	s_ashr_i32 s5, s4, 31
	s_and_b32 s12, s4, 63
	v_mbcnt_lo_u32_b32 v0, -1, 0
	v_ashrrev_i32_e32 v9, 31, v1
	s_cmp_eq_u64 s[12:13], 0
	v_mbcnt_hi_u32_b32 v8, -1, v0
	s_cbranch_scc1 .LBB11_18
; %bb.4:
	v_and_b32_e32 v0, 64, v8
	v_xor_b32_e32 v10, 1, v1
	v_and_or_b32 v4, v10, 63, v0
	v_lshlrev_b32_e32 v4, 2, v4
	ds_bpermute_b32 v5, v4, v3
	ds_bpermute_b32 v4, v4, v2
	v_cmp_gt_i32_e32 vcc, s4, v10
	s_waitcnt lgkmcnt(1)
	v_and_b32_e32 v11, 0xff00, v5
	v_and_b32_e32 v12, 0xff0000, v5
	;; [unrolled: 1-line block ×3, first 2 shown]
	v_or_b32_sdwa v5, v5, v11 dst_sel:DWORD dst_unused:UNUSED_PAD src0_sel:BYTE_0 src1_sel:DWORD
	v_or3_b32 v5, v5, v12, v13
	s_waitcnt lgkmcnt(0)
	v_or3_b32 v4, v4, 0, 0
	v_xor_b32_e32 v12, 2, v1
	v_add_f64 v[4:5], v[2:3], v[4:5]
	v_and_or_b32 v10, v12, 63, v0
	v_cndmask_b32_e32 v5, v3, v5, vcc
	v_lshlrev_b32_e32 v10, 2, v10
	ds_bpermute_b32 v11, v10, v5
	v_cndmask_b32_e32 v4, v2, v4, vcc
	ds_bpermute_b32 v10, v10, v4
	v_cmp_gt_i32_e32 vcc, s4, v12
	v_xor_b32_e32 v12, 4, v1
	s_waitcnt lgkmcnt(1)
	v_and_b32_e32 v13, 0xff00, v11
	v_and_b32_e32 v14, 0xff0000, v11
	v_or_b32_sdwa v13, v11, v13 dst_sel:DWORD dst_unused:UNUSED_PAD src0_sel:BYTE_0 src1_sel:DWORD
	v_and_b32_e32 v11, 0xff000000, v11
	v_or3_b32 v11, v13, v14, v11
	s_waitcnt lgkmcnt(0)
	v_or3_b32 v10, v10, 0, 0
	v_add_f64 v[10:11], v[4:5], v[10:11]
	v_cndmask_b32_e32 v5, v5, v11, vcc
	v_and_or_b32 v11, v12, 63, v0
	v_lshlrev_b32_e32 v11, 2, v11
	ds_bpermute_b32 v13, v11, v5
	v_cndmask_b32_e32 v4, v4, v10, vcc
	ds_bpermute_b32 v10, v11, v4
	v_cmp_gt_i32_e32 vcc, s4, v12
	v_xor_b32_e32 v12, 8, v1
	s_waitcnt lgkmcnt(1)
	v_and_b32_e32 v11, 0xff00, v13
	v_and_b32_e32 v14, 0xff0000, v13
	v_or_b32_sdwa v11, v13, v11 dst_sel:DWORD dst_unused:UNUSED_PAD src0_sel:BYTE_0 src1_sel:DWORD
	v_and_b32_e32 v13, 0xff000000, v13
	v_or3_b32 v11, v11, v14, v13
	s_waitcnt lgkmcnt(0)
	v_or3_b32 v10, v10, 0, 0
	v_add_f64 v[10:11], v[4:5], v[10:11]
	v_cndmask_b32_e32 v5, v5, v11, vcc
	v_and_or_b32 v11, v12, 63, v0
	;; [unrolled: 17-line block ×3, first 2 shown]
	v_lshlrev_b32_e32 v11, 2, v11
	ds_bpermute_b32 v13, v11, v5
	v_cndmask_b32_e32 v4, v4, v10, vcc
	ds_bpermute_b32 v10, v11, v4
	v_cmp_gt_i32_e32 vcc, s4, v12
	v_xor_b32_e32 v12, 32, v1
	s_waitcnt lgkmcnt(1)
	v_and_b32_e32 v11, 0xff00, v13
	v_and_b32_e32 v14, 0xff0000, v13
	v_or_b32_sdwa v11, v13, v11 dst_sel:DWORD dst_unused:UNUSED_PAD src0_sel:BYTE_0 src1_sel:DWORD
	v_and_b32_e32 v13, 0xff000000, v13
	v_or3_b32 v11, v11, v14, v13
	s_waitcnt lgkmcnt(0)
	v_or3_b32 v10, v10, 0, 0
	v_add_f64 v[10:11], v[4:5], v[10:11]
	v_and_or_b32 v0, v12, 63, v0
	v_cndmask_b32_e32 v5, v5, v11, vcc
	v_lshlrev_b32_e32 v0, 2, v0
	ds_bpermute_b32 v11, v0, v5
	v_cndmask_b32_e32 v4, v4, v10, vcc
	ds_bpermute_b32 v0, v0, v4
	v_cmp_gt_i32_e32 vcc, s4, v12
	s_waitcnt lgkmcnt(1)
	v_and_b32_e32 v10, 0xff00, v11
	v_and_b32_e32 v13, 0xff0000, v11
	v_or_b32_sdwa v10, v11, v10 dst_sel:DWORD dst_unused:UNUSED_PAD src0_sel:BYTE_0 src1_sel:DWORD
	v_and_b32_e32 v11, 0xff000000, v11
	v_or3_b32 v11, v10, v13, v11
	s_waitcnt lgkmcnt(0)
	v_or3_b32 v10, v0, 0, 0
	v_add_f64 v[10:11], v[4:5], v[10:11]
	v_cndmask_b32_e32 v5, v5, v11, vcc
	v_cndmask_b32_e32 v4, v4, v10, vcc
	s_cbranch_execnz .LBB11_6
.LBB11_5:
	v_and_b32_e32 v0, 64, v8
	v_add_u32_e32 v0, 64, v0
	v_xor_b32_e32 v4, 1, v8
	v_cmp_lt_i32_e32 vcc, v4, v0
	v_cndmask_b32_e32 v4, v8, v4, vcc
	v_lshlrev_b32_e32 v4, 2, v4
	ds_bpermute_b32 v5, v4, v3
	ds_bpermute_b32 v4, v4, v2
	s_waitcnt lgkmcnt(1)
	v_and_b32_e32 v10, 0xff00, v5
	v_and_b32_e32 v11, 0xff0000, v5
	v_or_b32_sdwa v10, v5, v10 dst_sel:DWORD dst_unused:UNUSED_PAD src0_sel:BYTE_0 src1_sel:DWORD
	v_and_b32_e32 v5, 0xff000000, v5
	v_or3_b32 v5, v10, v11, v5
	s_waitcnt lgkmcnt(0)
	v_or3_b32 v4, v4, 0, 0
	v_add_f64 v[2:3], v[2:3], v[4:5]
	v_xor_b32_e32 v4, 2, v8
	v_cmp_lt_i32_e32 vcc, v4, v0
	v_cndmask_b32_e32 v4, v8, v4, vcc
	v_lshlrev_b32_e32 v4, 2, v4
	ds_bpermute_b32 v5, v4, v3
	ds_bpermute_b32 v4, v4, v2
	s_waitcnt lgkmcnt(1)
	v_and_b32_e32 v10, 0xff00, v5
	v_and_b32_e32 v11, 0xff0000, v5
	v_or_b32_sdwa v10, v5, v10 dst_sel:DWORD dst_unused:UNUSED_PAD src0_sel:BYTE_0 src1_sel:DWORD
	v_and_b32_e32 v5, 0xff000000, v5
	v_or3_b32 v5, v10, v11, v5
	s_waitcnt lgkmcnt(0)
	v_or3_b32 v4, v4, 0, 0
	v_add_f64 v[2:3], v[2:3], v[4:5]
	;; [unrolled: 15-line block ×6, first 2 shown]
.LBB11_6:
	s_cmpk_lt_i32 s4, 0x41
	s_cbranch_scc1 .LBB11_14
; %bb.7:
	v_lshrrev_b32_e32 v0, 26, v9
	v_add_u32_e32 v2, v1, v0
	v_and_b32_e32 v0, 0xffffffc0, v2
	v_sub_u32_e32 v0, v1, v0
	v_cmp_eq_u32_e32 vcc, 0, v0
	s_and_saveexec_b64 s[12:13], vcc
	s_cbranch_execz .LBB11_9
; %bb.8:
	v_ashrrev_i32_e32 v2, 6, v2
	v_lshlrev_b32_e32 v2, 3, v2
	ds_write_b64 v2, v[4:5]
.LBB11_9:
	s_or_b64 exec, exec, s[12:13]
	v_add_co_u32_e32 v2, vcc, 63, v1
	v_addc_co_u32_e32 v3, vcc, 0, v9, vcc
	s_mov_b64 s[12:13], 0x7f
	v_cmp_gt_u64_e32 vcc, s[12:13], v[2:3]
	s_waitcnt lgkmcnt(0)
	s_barrier
	s_and_saveexec_b64 s[12:13], vcc
	s_cbranch_execz .LBB11_13
; %bb.10:
	v_ashrrev_i32_e32 v1, 31, v0
	v_lshlrev_b64 v[2:3], 6, v[0:1]
	v_cmp_gt_i64_e32 vcc, s[4:5], v[2:3]
	v_pk_mov_b32 v[2:3], s[2:3], s[2:3] op_sel:[0,1]
	s_and_saveexec_b64 s[4:5], vcc
	s_cbranch_execz .LBB11_12
; %bb.11:
	v_lshlrev_b32_e32 v0, 3, v0
	ds_read_b64 v[2:3], v0
.LBB11_12:
	s_or_b64 exec, exec, s[4:5]
	v_and_b32_e32 v0, 64, v8
	v_add_u32_e32 v4, 64, v0
	v_xor_b32_e32 v0, 1, v8
	v_cmp_lt_i32_e32 vcc, v0, v4
	v_cndmask_b32_e32 v0, v8, v0, vcc
	v_lshlrev_b32_e32 v0, 2, v0
	s_waitcnt lgkmcnt(0)
	ds_bpermute_b32 v1, v0, v3
	ds_bpermute_b32 v0, v0, v2
	s_waitcnt lgkmcnt(1)
	v_and_b32_e32 v5, 0xff00, v1
	v_and_b32_e32 v9, 0xff0000, v1
	v_or_b32_sdwa v5, v1, v5 dst_sel:DWORD dst_unused:UNUSED_PAD src0_sel:BYTE_0 src1_sel:DWORD
	v_and_b32_e32 v1, 0xff000000, v1
	v_or3_b32 v1, v5, v9, v1
	s_waitcnt lgkmcnt(0)
	v_or3_b32 v0, v0, 0, 0
	v_add_f64 v[0:1], v[2:3], v[0:1]
	v_xor_b32_e32 v2, 2, v8
	v_cmp_lt_i32_e32 vcc, v2, v4
	v_cndmask_b32_e32 v2, v8, v2, vcc
	v_lshlrev_b32_e32 v2, 2, v2
	ds_bpermute_b32 v3, v2, v1
	ds_bpermute_b32 v2, v2, v0
	s_waitcnt lgkmcnt(1)
	v_and_b32_e32 v5, 0xff00, v3
	v_and_b32_e32 v9, 0xff0000, v3
	v_or_b32_sdwa v5, v3, v5 dst_sel:DWORD dst_unused:UNUSED_PAD src0_sel:BYTE_0 src1_sel:DWORD
	v_and_b32_e32 v3, 0xff000000, v3
	v_or3_b32 v3, v5, v9, v3
	s_waitcnt lgkmcnt(0)
	v_or3_b32 v2, v2, 0, 0
	v_add_f64 v[0:1], v[0:1], v[2:3]
	v_xor_b32_e32 v2, 4, v8
	v_cmp_lt_i32_e32 vcc, v2, v4
	v_cndmask_b32_e32 v2, v8, v2, vcc
	v_lshlrev_b32_e32 v2, 2, v2
	;; [unrolled: 15-line block ×3, first 2 shown]
	ds_bpermute_b32 v3, v2, v1
	ds_bpermute_b32 v2, v2, v0
	s_waitcnt lgkmcnt(1)
	v_and_b32_e32 v4, 0xff00, v3
	v_and_b32_e32 v5, 0xff0000, v3
	v_or_b32_sdwa v4, v3, v4 dst_sel:DWORD dst_unused:UNUSED_PAD src0_sel:BYTE_0 src1_sel:DWORD
	v_and_b32_e32 v3, 0xff000000, v3
	v_or3_b32 v3, v4, v5, v3
	s_waitcnt lgkmcnt(0)
	v_or3_b32 v2, v2, 0, 0
	v_add_f64 v[4:5], v[0:1], v[2:3]
.LBB11_13:
	s_or_b64 exec, exec, s[12:13]
	s_barrier
.LBB11_14:
	v_sub_u32_e32 v0, 0, v7
	v_cmp_eq_u32_e32 vcc, v6, v0
	v_cmp_neq_f64_e64 s[2:3], s[2:3], v[4:5]
	s_and_b64 s[2:3], vcc, s[2:3]
	s_and_saveexec_b64 s[4:5], s[2:3]
	s_cbranch_execz .LBB11_17
; %bb.15:
	s_mul_i32 s1, s11, s8
	s_add_i32 s0, s1, s0
	s_mul_i32 s0, s0, s10
	s_add_i32 s0, s0, s6
	s_ashr_i32 s1, s0, 31
	s_lshr_b32 s1, s1, 27
	s_add_i32 s1, s0, s1
	s_and_b32 s1, s1, 0x1fffffe0
	s_sub_i32 s0, s0, s1
	s_lshl_b32 s0, s0, 3
	s_ashr_i32 s1, s0, 31
	s_lshl_b64 s[0:1], s[0:1], 3
	s_add_u32 s0, s14, s0
	s_addc_u32 s1, s15, s1
	v_pk_mov_b32 v[6:7], s[0:1], s[0:1] op_sel:[0,1]
	flat_load_dwordx2 v[2:3], v[6:7]
	s_mov_b64 s[0:1], 0
.LBB11_16:                              ; =>This Inner Loop Header: Depth=1
	s_waitcnt vmcnt(0) lgkmcnt(0)
	v_add_f64 v[0:1], v[2:3], v[4:5]
	flat_atomic_cmpswap_x2 v[0:1], v[6:7], v[0:3] glc
	s_waitcnt vmcnt(0) lgkmcnt(0)
	v_cmp_eq_u64_e32 vcc, v[0:1], v[2:3]
	s_or_b64 s[0:1], vcc, s[0:1]
	v_pk_mov_b32 v[2:3], v[0:1], v[0:1] op_sel:[0,1]
	s_andn2_b64 exec, exec, s[0:1]
	s_cbranch_execnz .LBB11_16
.LBB11_17:
	s_endpgm
.LBB11_18:
                                        ; implicit-def: $vgpr4_vgpr5
	s_branch .LBB11_5
	.section	.rodata,"a",@progbits
	.p2align	6, 0x0
	.amdhsa_kernel _ZN4RAJA6policy3hip4impl18forallp_hip_kernelINS1_8hip_execINS_17iteration_mapping6DirectENS_3hip11IndexGlobalILNS_9named_dimE0ELi256ELi0EEENS7_40AvoidDeviceMaxThreadOccupancyConcretizerINS7_34FractionOffsetOccupancyConcretizerINS_8FractionImLm1ELm1EEELln1EEEEELb1EEENS_9Iterators16numeric_iteratorIllPlEEZN8rajaperf9algorithm10REDUCE_SUM17runHipVariantRAJAILm256ENSM_13gpu_algorithm19block_atomic_helperENSM_11gpu_mapping20global_direct_helperEEEvNSM_9VariantIDEEUllE_lNS_4expt15ForallParamPackIJEEES6_SA_TnNSt9enable_ifIXaasr3std10is_base_ofINS5_10DirectBaseET4_EE5valuegtsrT5_10block_sizeLi0EEmE4typeELm256EEEvT1_T0_T2_T3_
		.amdhsa_group_segment_fixed_size 128
		.amdhsa_private_segment_fixed_size 0
		.amdhsa_kernarg_size 328
		.amdhsa_user_sgpr_count 6
		.amdhsa_user_sgpr_private_segment_buffer 1
		.amdhsa_user_sgpr_dispatch_ptr 0
		.amdhsa_user_sgpr_queue_ptr 0
		.amdhsa_user_sgpr_kernarg_segment_ptr 1
		.amdhsa_user_sgpr_dispatch_id 0
		.amdhsa_user_sgpr_flat_scratch_init 0
		.amdhsa_user_sgpr_kernarg_preload_length 0
		.amdhsa_user_sgpr_kernarg_preload_offset 0
		.amdhsa_user_sgpr_private_segment_size 0
		.amdhsa_uses_dynamic_stack 0
		.amdhsa_system_sgpr_private_segment_wavefront_offset 0
		.amdhsa_system_sgpr_workgroup_id_x 1
		.amdhsa_system_sgpr_workgroup_id_y 1
		.amdhsa_system_sgpr_workgroup_id_z 1
		.amdhsa_system_sgpr_workgroup_info 0
		.amdhsa_system_vgpr_workitem_id 2
		.amdhsa_next_free_vgpr 15
		.amdhsa_next_free_sgpr 20
		.amdhsa_accum_offset 16
		.amdhsa_reserve_vcc 1
		.amdhsa_reserve_flat_scratch 0
		.amdhsa_float_round_mode_32 0
		.amdhsa_float_round_mode_16_64 0
		.amdhsa_float_denorm_mode_32 3
		.amdhsa_float_denorm_mode_16_64 3
		.amdhsa_dx10_clamp 1
		.amdhsa_ieee_mode 1
		.amdhsa_fp16_overflow 0
		.amdhsa_tg_split 0
		.amdhsa_exception_fp_ieee_invalid_op 0
		.amdhsa_exception_fp_denorm_src 0
		.amdhsa_exception_fp_ieee_div_zero 0
		.amdhsa_exception_fp_ieee_overflow 0
		.amdhsa_exception_fp_ieee_underflow 0
		.amdhsa_exception_fp_ieee_inexact 0
		.amdhsa_exception_int_div_zero 0
	.end_amdhsa_kernel
	.section	.text._ZN4RAJA6policy3hip4impl18forallp_hip_kernelINS1_8hip_execINS_17iteration_mapping6DirectENS_3hip11IndexGlobalILNS_9named_dimE0ELi256ELi0EEENS7_40AvoidDeviceMaxThreadOccupancyConcretizerINS7_34FractionOffsetOccupancyConcretizerINS_8FractionImLm1ELm1EEELln1EEEEELb1EEENS_9Iterators16numeric_iteratorIllPlEEZN8rajaperf9algorithm10REDUCE_SUM17runHipVariantRAJAILm256ENSM_13gpu_algorithm19block_atomic_helperENSM_11gpu_mapping20global_direct_helperEEEvNSM_9VariantIDEEUllE_lNS_4expt15ForallParamPackIJEEES6_SA_TnNSt9enable_ifIXaasr3std10is_base_ofINS5_10DirectBaseET4_EE5valuegtsrT5_10block_sizeLi0EEmE4typeELm256EEEvT1_T0_T2_T3_,"axG",@progbits,_ZN4RAJA6policy3hip4impl18forallp_hip_kernelINS1_8hip_execINS_17iteration_mapping6DirectENS_3hip11IndexGlobalILNS_9named_dimE0ELi256ELi0EEENS7_40AvoidDeviceMaxThreadOccupancyConcretizerINS7_34FractionOffsetOccupancyConcretizerINS_8FractionImLm1ELm1EEELln1EEEEELb1EEENS_9Iterators16numeric_iteratorIllPlEEZN8rajaperf9algorithm10REDUCE_SUM17runHipVariantRAJAILm256ENSM_13gpu_algorithm19block_atomic_helperENSM_11gpu_mapping20global_direct_helperEEEvNSM_9VariantIDEEUllE_lNS_4expt15ForallParamPackIJEEES6_SA_TnNSt9enable_ifIXaasr3std10is_base_ofINS5_10DirectBaseET4_EE5valuegtsrT5_10block_sizeLi0EEmE4typeELm256EEEvT1_T0_T2_T3_,comdat
.Lfunc_end11:
	.size	_ZN4RAJA6policy3hip4impl18forallp_hip_kernelINS1_8hip_execINS_17iteration_mapping6DirectENS_3hip11IndexGlobalILNS_9named_dimE0ELi256ELi0EEENS7_40AvoidDeviceMaxThreadOccupancyConcretizerINS7_34FractionOffsetOccupancyConcretizerINS_8FractionImLm1ELm1EEELln1EEEEELb1EEENS_9Iterators16numeric_iteratorIllPlEEZN8rajaperf9algorithm10REDUCE_SUM17runHipVariantRAJAILm256ENSM_13gpu_algorithm19block_atomic_helperENSM_11gpu_mapping20global_direct_helperEEEvNSM_9VariantIDEEUllE_lNS_4expt15ForallParamPackIJEEES6_SA_TnNSt9enable_ifIXaasr3std10is_base_ofINS5_10DirectBaseET4_EE5valuegtsrT5_10block_sizeLi0EEmE4typeELm256EEEvT1_T0_T2_T3_, .Lfunc_end11-_ZN4RAJA6policy3hip4impl18forallp_hip_kernelINS1_8hip_execINS_17iteration_mapping6DirectENS_3hip11IndexGlobalILNS_9named_dimE0ELi256ELi0EEENS7_40AvoidDeviceMaxThreadOccupancyConcretizerINS7_34FractionOffsetOccupancyConcretizerINS_8FractionImLm1ELm1EEELln1EEEEELb1EEENS_9Iterators16numeric_iteratorIllPlEEZN8rajaperf9algorithm10REDUCE_SUM17runHipVariantRAJAILm256ENSM_13gpu_algorithm19block_atomic_helperENSM_11gpu_mapping20global_direct_helperEEEvNSM_9VariantIDEEUllE_lNS_4expt15ForallParamPackIJEEES6_SA_TnNSt9enable_ifIXaasr3std10is_base_ofINS5_10DirectBaseET4_EE5valuegtsrT5_10block_sizeLi0EEmE4typeELm256EEEvT1_T0_T2_T3_
                                        ; -- End function
	.section	.AMDGPU.csdata,"",@progbits
; Kernel info:
; codeLenInByte = 2276
; NumSgprs: 24
; NumVgprs: 15
; NumAgprs: 0
; TotalNumVgprs: 15
; ScratchSize: 0
; MemoryBound: 0
; FloatMode: 240
; IeeeMode: 1
; LDSByteSize: 128 bytes/workgroup (compile time only)
; SGPRBlocks: 2
; VGPRBlocks: 1
; NumSGPRsForWavesPerEU: 24
; NumVGPRsForWavesPerEU: 15
; AccumOffset: 16
; Occupancy: 8
; WaveLimiterHint : 0
; COMPUTE_PGM_RSRC2:SCRATCH_EN: 0
; COMPUTE_PGM_RSRC2:USER_SGPR: 6
; COMPUTE_PGM_RSRC2:TRAP_HANDLER: 0
; COMPUTE_PGM_RSRC2:TGID_X_EN: 1
; COMPUTE_PGM_RSRC2:TGID_Y_EN: 1
; COMPUTE_PGM_RSRC2:TGID_Z_EN: 1
; COMPUTE_PGM_RSRC2:TIDIG_COMP_CNT: 2
; COMPUTE_PGM_RSRC3_GFX90A:ACCUM_OFFSET: 3
; COMPUTE_PGM_RSRC3_GFX90A:TG_SPLIT: 0
	.section	.text._ZN4RAJA6policy3hip4impl18forallp_hip_kernelINS1_8hip_execINS_17iteration_mapping6DirectENS_3hip11IndexGlobalILNS_9named_dimE0ELi256ELi0EEENS7_40AvoidDeviceMaxThreadOccupancyConcretizerINS7_34FractionOffsetOccupancyConcretizerINS_8FractionImLm1ELm1EEELln1EEEEELb1EEENS_9Iterators16numeric_iteratorIllPlEEZN8rajaperf9algorithm10REDUCE_SUM17runHipVariantRAJAILm256ENSM_13gpu_algorithm19block_device_helperENSM_11gpu_mapping20global_direct_helperEEEvNSM_9VariantIDEEUllE_lNS_4expt15ForallParamPackIJEEES6_SA_TnNSt9enable_ifIXaasr3std10is_base_ofINS5_10DirectBaseET4_EE5valuegtsrT5_10block_sizeLi0EEmE4typeELm256EEEvT1_T0_T2_T3_,"axG",@progbits,_ZN4RAJA6policy3hip4impl18forallp_hip_kernelINS1_8hip_execINS_17iteration_mapping6DirectENS_3hip11IndexGlobalILNS_9named_dimE0ELi256ELi0EEENS7_40AvoidDeviceMaxThreadOccupancyConcretizerINS7_34FractionOffsetOccupancyConcretizerINS_8FractionImLm1ELm1EEELln1EEEEELb1EEENS_9Iterators16numeric_iteratorIllPlEEZN8rajaperf9algorithm10REDUCE_SUM17runHipVariantRAJAILm256ENSM_13gpu_algorithm19block_device_helperENSM_11gpu_mapping20global_direct_helperEEEvNSM_9VariantIDEEUllE_lNS_4expt15ForallParamPackIJEEES6_SA_TnNSt9enable_ifIXaasr3std10is_base_ofINS5_10DirectBaseET4_EE5valuegtsrT5_10block_sizeLi0EEmE4typeELm256EEEvT1_T0_T2_T3_,comdat
	.protected	_ZN4RAJA6policy3hip4impl18forallp_hip_kernelINS1_8hip_execINS_17iteration_mapping6DirectENS_3hip11IndexGlobalILNS_9named_dimE0ELi256ELi0EEENS7_40AvoidDeviceMaxThreadOccupancyConcretizerINS7_34FractionOffsetOccupancyConcretizerINS_8FractionImLm1ELm1EEELln1EEEEELb1EEENS_9Iterators16numeric_iteratorIllPlEEZN8rajaperf9algorithm10REDUCE_SUM17runHipVariantRAJAILm256ENSM_13gpu_algorithm19block_device_helperENSM_11gpu_mapping20global_direct_helperEEEvNSM_9VariantIDEEUllE_lNS_4expt15ForallParamPackIJEEES6_SA_TnNSt9enable_ifIXaasr3std10is_base_ofINS5_10DirectBaseET4_EE5valuegtsrT5_10block_sizeLi0EEmE4typeELm256EEEvT1_T0_T2_T3_ ; -- Begin function _ZN4RAJA6policy3hip4impl18forallp_hip_kernelINS1_8hip_execINS_17iteration_mapping6DirectENS_3hip11IndexGlobalILNS_9named_dimE0ELi256ELi0EEENS7_40AvoidDeviceMaxThreadOccupancyConcretizerINS7_34FractionOffsetOccupancyConcretizerINS_8FractionImLm1ELm1EEELln1EEEEELb1EEENS_9Iterators16numeric_iteratorIllPlEEZN8rajaperf9algorithm10REDUCE_SUM17runHipVariantRAJAILm256ENSM_13gpu_algorithm19block_device_helperENSM_11gpu_mapping20global_direct_helperEEEvNSM_9VariantIDEEUllE_lNS_4expt15ForallParamPackIJEEES6_SA_TnNSt9enable_ifIXaasr3std10is_base_ofINS5_10DirectBaseET4_EE5valuegtsrT5_10block_sizeLi0EEmE4typeELm256EEEvT1_T0_T2_T3_
	.globl	_ZN4RAJA6policy3hip4impl18forallp_hip_kernelINS1_8hip_execINS_17iteration_mapping6DirectENS_3hip11IndexGlobalILNS_9named_dimE0ELi256ELi0EEENS7_40AvoidDeviceMaxThreadOccupancyConcretizerINS7_34FractionOffsetOccupancyConcretizerINS_8FractionImLm1ELm1EEELln1EEEEELb1EEENS_9Iterators16numeric_iteratorIllPlEEZN8rajaperf9algorithm10REDUCE_SUM17runHipVariantRAJAILm256ENSM_13gpu_algorithm19block_device_helperENSM_11gpu_mapping20global_direct_helperEEEvNSM_9VariantIDEEUllE_lNS_4expt15ForallParamPackIJEEES6_SA_TnNSt9enable_ifIXaasr3std10is_base_ofINS5_10DirectBaseET4_EE5valuegtsrT5_10block_sizeLi0EEmE4typeELm256EEEvT1_T0_T2_T3_
	.p2align	8
	.type	_ZN4RAJA6policy3hip4impl18forallp_hip_kernelINS1_8hip_execINS_17iteration_mapping6DirectENS_3hip11IndexGlobalILNS_9named_dimE0ELi256ELi0EEENS7_40AvoidDeviceMaxThreadOccupancyConcretizerINS7_34FractionOffsetOccupancyConcretizerINS_8FractionImLm1ELm1EEELln1EEEEELb1EEENS_9Iterators16numeric_iteratorIllPlEEZN8rajaperf9algorithm10REDUCE_SUM17runHipVariantRAJAILm256ENSM_13gpu_algorithm19block_device_helperENSM_11gpu_mapping20global_direct_helperEEEvNSM_9VariantIDEEUllE_lNS_4expt15ForallParamPackIJEEES6_SA_TnNSt9enable_ifIXaasr3std10is_base_ofINS5_10DirectBaseET4_EE5valuegtsrT5_10block_sizeLi0EEmE4typeELm256EEEvT1_T0_T2_T3_,@function
_ZN4RAJA6policy3hip4impl18forallp_hip_kernelINS1_8hip_execINS_17iteration_mapping6DirectENS_3hip11IndexGlobalILNS_9named_dimE0ELi256ELi0EEENS7_40AvoidDeviceMaxThreadOccupancyConcretizerINS7_34FractionOffsetOccupancyConcretizerINS_8FractionImLm1ELm1EEELln1EEEEELb1EEENS_9Iterators16numeric_iteratorIllPlEEZN8rajaperf9algorithm10REDUCE_SUM17runHipVariantRAJAILm256ENSM_13gpu_algorithm19block_device_helperENSM_11gpu_mapping20global_direct_helperEEEvNSM_9VariantIDEEUllE_lNS_4expt15ForallParamPackIJEEES6_SA_TnNSt9enable_ifIXaasr3std10is_base_ofINS5_10DirectBaseET4_EE5valuegtsrT5_10block_sizeLi0EEmE4typeELm256EEEvT1_T0_T2_T3_: ; @_ZN4RAJA6policy3hip4impl18forallp_hip_kernelINS1_8hip_execINS_17iteration_mapping6DirectENS_3hip11IndexGlobalILNS_9named_dimE0ELi256ELi0EEENS7_40AvoidDeviceMaxThreadOccupancyConcretizerINS7_34FractionOffsetOccupancyConcretizerINS_8FractionImLm1ELm1EEELln1EEEEELb1EEENS_9Iterators16numeric_iteratorIllPlEEZN8rajaperf9algorithm10REDUCE_SUM17runHipVariantRAJAILm256ENSM_13gpu_algorithm19block_device_helperENSM_11gpu_mapping20global_direct_helperEEEvNSM_9VariantIDEEUllE_lNS_4expt15ForallParamPackIJEEES6_SA_TnNSt9enable_ifIXaasr3std10is_base_ofINS5_10DirectBaseET4_EE5valuegtsrT5_10block_sizeLi0EEmE4typeELm256EEEvT1_T0_T2_T3_
; %bb.0:
	s_load_dwordx4 s[20:23], s[4:5], 0x40
	s_load_dwordx4 s[12:15], s[4:5], 0x0
	;; [unrolled: 1-line block ×3, first 2 shown]
	s_mov_b32 s0, s7
	s_mov_b32 s7, 0
	v_and_b32_e32 v1, 0x3ff, v0
	s_lshl_b64 s[2:3], s[6:7], 8
	v_or_b32_e32 v4, s2, v1
	v_mov_b32_e32 v5, s3
	s_waitcnt lgkmcnt(0)
	v_cmp_gt_i64_e32 vcc, s[22:23], v[4:5]
	v_pk_mov_b32 v[2:3], s[16:17], s[16:17] op_sel:[0,1]
	s_and_saveexec_b64 s[2:3], vcc
	s_cbranch_execz .LBB12_2
; %bb.1:
	s_load_dwordx2 s[10:11], s[4:5], 0x38
	s_lshl_b64 s[20:21], s[20:21], 3
	v_lshlrev_b64 v[2:3], 3, v[4:5]
	s_waitcnt lgkmcnt(0)
	s_add_u32 s1, s20, s10
	s_addc_u32 s7, s21, s11
	v_mov_b32_e32 v4, s7
	v_add_co_u32_e32 v2, vcc, s1, v2
	v_addc_co_u32_e32 v3, vcc, v4, v3, vcc
	global_load_dwordx2 v[2:3], v[2:3], off
	s_waitcnt vmcnt(0)
	v_add_f64 v[2:3], s[16:17], v[2:3]
.LBB12_2:
	s_or_b64 exec, exec, s[2:3]
	s_cmp_lg_u64 s[12:13], 0
	s_cbranch_scc0 .LBB12_4
.LBB12_3:
	s_endpgm
.LBB12_4:
	s_load_dwordx2 s[20:21], s[4:5], 0x58
	s_add_u32 s1, s4, 0x58
	v_mov_b32_e32 v4, 0
	global_load_dword v5, v4, s[4:5] offset:102
	s_addc_u32 s3, s5, 0
	s_waitcnt lgkmcnt(0)
	s_cmp_lt_u32 s6, s20
	s_cselect_b32 s2, 12, 18
	s_add_u32 s2, s1, s2
	s_addc_u32 s3, s3, 0
	global_load_ushort v4, v4, s[2:3]
	v_bfe_u32 v6, v0, 10, 10
	v_bfe_u32 v0, v0, 20, 10
	s_mov_b32 s13, 0
	s_waitcnt vmcnt(1)
	v_readfirstlane_b32 s1, v5
	s_lshr_b32 s2, s1, 16
	s_and_b32 s1, s1, 0xffff
	s_waitcnt vmcnt(0)
	v_readfirstlane_b32 s3, v4
	s_mul_i32 s1, s1, s3
	s_mul_i32 s2, s1, s2
	v_mul_u32_u24_e32 v5, v6, v4
	v_mul_lo_u32 v0, s1, v0
	s_ashr_i32 s3, s2, 31
	s_and_b32 s12, s2, 63
	v_add3_u32 v11, v5, v1, v0
	s_cmp_lg_u64 s[12:13], 0
	v_mbcnt_lo_u32_b32 v0, -1, 0
	s_cselect_b64 s[10:11], -1, 0
	s_cmp_eq_u64 s[12:13], 0
	v_mbcnt_hi_u32_b32 v10, -1, v0
	s_cbranch_scc1 .LBB12_40
; %bb.5:
	v_and_b32_e32 v6, 64, v10
	v_xor_b32_e32 v4, 1, v11
	v_and_or_b32 v0, v4, 63, v6
	v_lshlrev_b32_e32 v0, 2, v0
	ds_bpermute_b32 v1, v0, v3
	ds_bpermute_b32 v0, v0, v2
	v_cmp_gt_i32_e32 vcc, s2, v4
	s_waitcnt lgkmcnt(1)
	v_and_b32_e32 v5, 0xff00, v1
	v_and_b32_e32 v7, 0xff0000, v1
	;; [unrolled: 1-line block ×3, first 2 shown]
	v_or_b32_sdwa v1, v1, v5 dst_sel:DWORD dst_unused:UNUSED_PAD src0_sel:BYTE_0 src1_sel:DWORD
	v_or3_b32 v1, v1, v7, v8
	s_waitcnt lgkmcnt(0)
	v_or3_b32 v0, v0, 0, 0
	v_xor_b32_e32 v7, 2, v11
	v_add_f64 v[0:1], v[2:3], v[0:1]
	v_and_or_b32 v4, v7, 63, v6
	v_cndmask_b32_e32 v1, v3, v1, vcc
	v_lshlrev_b32_e32 v4, 2, v4
	ds_bpermute_b32 v5, v4, v1
	v_cndmask_b32_e32 v0, v2, v0, vcc
	ds_bpermute_b32 v4, v4, v0
	v_cmp_gt_i32_e32 vcc, s2, v7
	v_xor_b32_e32 v7, 4, v11
	s_waitcnt lgkmcnt(1)
	v_and_b32_e32 v8, 0xff00, v5
	v_and_b32_e32 v9, 0xff0000, v5
	v_or_b32_sdwa v8, v5, v8 dst_sel:DWORD dst_unused:UNUSED_PAD src0_sel:BYTE_0 src1_sel:DWORD
	v_and_b32_e32 v5, 0xff000000, v5
	v_or3_b32 v5, v8, v9, v5
	s_waitcnt lgkmcnt(0)
	v_or3_b32 v4, v4, 0, 0
	v_add_f64 v[4:5], v[0:1], v[4:5]
	v_cndmask_b32_e32 v1, v1, v5, vcc
	v_and_or_b32 v5, v7, 63, v6
	v_lshlrev_b32_e32 v5, 2, v5
	ds_bpermute_b32 v8, v5, v1
	v_cndmask_b32_e32 v0, v0, v4, vcc
	ds_bpermute_b32 v4, v5, v0
	v_cmp_gt_i32_e32 vcc, s2, v7
	v_xor_b32_e32 v7, 8, v11
	s_waitcnt lgkmcnt(1)
	v_and_b32_e32 v5, 0xff00, v8
	v_and_b32_e32 v9, 0xff0000, v8
	v_or_b32_sdwa v5, v8, v5 dst_sel:DWORD dst_unused:UNUSED_PAD src0_sel:BYTE_0 src1_sel:DWORD
	v_and_b32_e32 v8, 0xff000000, v8
	v_or3_b32 v5, v5, v9, v8
	s_waitcnt lgkmcnt(0)
	v_or3_b32 v4, v4, 0, 0
	v_add_f64 v[4:5], v[0:1], v[4:5]
	v_cndmask_b32_e32 v1, v1, v5, vcc
	v_and_or_b32 v5, v7, 63, v6
	v_lshlrev_b32_e32 v5, 2, v5
	ds_bpermute_b32 v8, v5, v1
	v_cndmask_b32_e32 v0, v0, v4, vcc
	ds_bpermute_b32 v4, v5, v0
	v_cmp_gt_i32_e32 vcc, s2, v7
	v_xor_b32_e32 v7, 16, v11
	s_waitcnt lgkmcnt(1)
	v_and_b32_e32 v5, 0xff00, v8
	v_and_b32_e32 v9, 0xff0000, v8
	v_or_b32_sdwa v5, v8, v5 dst_sel:DWORD dst_unused:UNUSED_PAD src0_sel:BYTE_0 src1_sel:DWORD
	v_and_b32_e32 v8, 0xff000000, v8
	v_or3_b32 v5, v5, v9, v8
	s_waitcnt lgkmcnt(0)
	v_or3_b32 v4, v4, 0, 0
	v_add_f64 v[4:5], v[0:1], v[4:5]
	v_cndmask_b32_e32 v1, v1, v5, vcc
	v_and_or_b32 v5, v7, 63, v6
	v_lshlrev_b32_e32 v5, 2, v5
	ds_bpermute_b32 v8, v5, v1
	v_cndmask_b32_e32 v0, v0, v4, vcc
	ds_bpermute_b32 v4, v5, v0
	v_cmp_gt_i32_e32 vcc, s2, v7
	v_xor_b32_e32 v7, 32, v11
	s_waitcnt lgkmcnt(1)
	v_and_b32_e32 v5, 0xff00, v8
	v_and_b32_e32 v9, 0xff0000, v8
	v_or_b32_sdwa v5, v8, v5 dst_sel:DWORD dst_unused:UNUSED_PAD src0_sel:BYTE_0 src1_sel:DWORD
	v_and_b32_e32 v8, 0xff000000, v8
	v_or3_b32 v5, v5, v9, v8
	s_waitcnt lgkmcnt(0)
	v_or3_b32 v4, v4, 0, 0
	v_add_f64 v[4:5], v[0:1], v[4:5]
	v_cndmask_b32_e32 v1, v1, v5, vcc
	v_and_or_b32 v5, v7, 63, v6
	v_lshlrev_b32_e32 v5, 2, v5
	ds_bpermute_b32 v6, v5, v1
	v_cndmask_b32_e32 v0, v0, v4, vcc
	ds_bpermute_b32 v4, v5, v0
	v_cmp_gt_i32_e32 vcc, s2, v7
	s_waitcnt lgkmcnt(1)
	v_and_b32_e32 v5, 0xff00, v6
	v_and_b32_e32 v8, 0xff0000, v6
	v_or_b32_sdwa v5, v6, v5 dst_sel:DWORD dst_unused:UNUSED_PAD src0_sel:BYTE_0 src1_sel:DWORD
	v_and_b32_e32 v6, 0xff000000, v6
	v_or3_b32 v5, v5, v8, v6
	s_waitcnt lgkmcnt(0)
	v_or3_b32 v4, v4, 0, 0
	v_add_f64 v[4:5], v[0:1], v[4:5]
	v_cndmask_b32_e32 v1, v1, v5, vcc
	v_cndmask_b32_e32 v0, v0, v4, vcc
	s_load_dwordx2 s[22:23], s[4:5], 0x28
	s_cbranch_execnz .LBB12_7
.LBB12_6:
	v_and_b32_e32 v0, 64, v10
	v_add_u32_e32 v6, 64, v0
	v_xor_b32_e32 v0, 1, v10
	v_cmp_lt_i32_e32 vcc, v0, v6
	v_cndmask_b32_e32 v0, v10, v0, vcc
	v_lshlrev_b32_e32 v0, 2, v0
	ds_bpermute_b32 v1, v0, v3
	ds_bpermute_b32 v0, v0, v2
	s_waitcnt lgkmcnt(0)
	v_and_b32_e32 v4, 0xff00, v1
	v_and_b32_e32 v5, 0xff0000, v1
	v_or_b32_sdwa v4, v1, v4 dst_sel:DWORD dst_unused:UNUSED_PAD src0_sel:BYTE_0 src1_sel:DWORD
	v_and_b32_e32 v1, 0xff000000, v1
	v_or3_b32 v1, v4, v5, v1
	v_xor_b32_e32 v4, 2, v10
	v_cmp_lt_i32_e32 vcc, v4, v6
	v_or3_b32 v0, v0, 0, 0
	v_cndmask_b32_e32 v4, v10, v4, vcc
	v_add_f64 v[0:1], v[2:3], v[0:1]
	v_lshlrev_b32_e32 v4, 2, v4
	ds_bpermute_b32 v5, v4, v1
	ds_bpermute_b32 v4, v4, v0
	s_waitcnt lgkmcnt(1)
	v_and_b32_e32 v7, 0xff00, v5
	v_and_b32_e32 v8, 0xff0000, v5
	v_or_b32_sdwa v7, v5, v7 dst_sel:DWORD dst_unused:UNUSED_PAD src0_sel:BYTE_0 src1_sel:DWORD
	v_and_b32_e32 v5, 0xff000000, v5
	v_or3_b32 v5, v7, v8, v5
	s_waitcnt lgkmcnt(0)
	v_or3_b32 v4, v4, 0, 0
	v_add_f64 v[0:1], v[0:1], v[4:5]
	v_xor_b32_e32 v4, 4, v10
	v_cmp_lt_i32_e32 vcc, v4, v6
	v_cndmask_b32_e32 v4, v10, v4, vcc
	v_lshlrev_b32_e32 v4, 2, v4
	ds_bpermute_b32 v5, v4, v1
	ds_bpermute_b32 v4, v4, v0
	s_waitcnt lgkmcnt(1)
	v_and_b32_e32 v7, 0xff00, v5
	v_and_b32_e32 v8, 0xff0000, v5
	v_or_b32_sdwa v7, v5, v7 dst_sel:DWORD dst_unused:UNUSED_PAD src0_sel:BYTE_0 src1_sel:DWORD
	v_and_b32_e32 v5, 0xff000000, v5
	v_or3_b32 v5, v7, v8, v5
	s_waitcnt lgkmcnt(0)
	v_or3_b32 v4, v4, 0, 0
	v_add_f64 v[0:1], v[0:1], v[4:5]
	v_xor_b32_e32 v4, 8, v10
	v_cmp_lt_i32_e32 vcc, v4, v6
	v_cndmask_b32_e32 v4, v10, v4, vcc
	;; [unrolled: 15-line block ×4, first 2 shown]
	v_lshlrev_b32_e32 v4, 2, v4
	ds_bpermute_b32 v5, v4, v1
	ds_bpermute_b32 v4, v4, v0
	s_waitcnt lgkmcnt(1)
	v_and_b32_e32 v6, 0xff00, v5
	v_and_b32_e32 v7, 0xff0000, v5
	v_or_b32_sdwa v6, v5, v6 dst_sel:DWORD dst_unused:UNUSED_PAD src0_sel:BYTE_0 src1_sel:DWORD
	v_and_b32_e32 v5, 0xff000000, v5
	v_or3_b32 v5, v6, v7, v5
	s_waitcnt lgkmcnt(0)
	v_or3_b32 v4, v4, 0, 0
	v_add_f64 v[0:1], v[0:1], v[4:5]
.LBB12_7:
	v_ashrrev_i32_e32 v12, 31, v11
	s_load_dword s1, s[4:5], 0x60
	v_lshrrev_b32_e32 v4, 26, v12
	v_add_u32_e32 v4, v11, v4
	v_ashrrev_i32_e32 v13, 6, v4
	v_and_b32_e32 v4, 0xffffffc0, v4
	v_sub_u32_e32 v4, v11, v4
	s_cmp_gt_i32 s2, 64
	s_cselect_b64 s[12:13], -1, 0
	s_cmpk_lt_i32 s2, 0x41
	v_ashrrev_i32_e32 v5, 31, v4
	s_cbranch_scc1 .LBB12_15
; %bb.8:
	v_cmp_eq_u32_e32 vcc, 0, v4
	s_and_saveexec_b64 s[4:5], vcc
	s_cbranch_execz .LBB12_10
; %bb.9:
	v_lshlrev_b32_e32 v6, 3, v13
	ds_write_b64 v6, v[0:1]
.LBB12_10:
	s_or_b64 exec, exec, s[4:5]
	v_add_co_u32_e32 v6, vcc, 63, v11
	v_addc_co_u32_e32 v7, vcc, 0, v12, vcc
	s_mov_b64 s[4:5], 0x7f
	v_cmp_gt_u64_e32 vcc, s[4:5], v[6:7]
	s_waitcnt lgkmcnt(0)
	s_barrier
	s_and_saveexec_b64 s[4:5], vcc
	s_cbranch_execz .LBB12_14
; %bb.11:
	v_lshlrev_b64 v[0:1], 6, v[4:5]
	v_cmp_gt_i64_e32 vcc, s[2:3], v[0:1]
	v_pk_mov_b32 v[0:1], s[16:17], s[16:17] op_sel:[0,1]
	s_and_saveexec_b64 s[24:25], vcc
	s_cbranch_execz .LBB12_13
; %bb.12:
	v_lshlrev_b32_e32 v0, 3, v4
	ds_read_b64 v[0:1], v0
.LBB12_13:
	s_or_b64 exec, exec, s[24:25]
	v_and_b32_e32 v6, 64, v10
	v_add_u32_e32 v8, 64, v6
	v_xor_b32_e32 v6, 1, v10
	v_cmp_lt_i32_e32 vcc, v6, v8
	v_cndmask_b32_e32 v6, v10, v6, vcc
	v_lshlrev_b32_e32 v6, 2, v6
	s_waitcnt lgkmcnt(0)
	ds_bpermute_b32 v7, v6, v1
	ds_bpermute_b32 v6, v6, v0
	s_waitcnt lgkmcnt(1)
	v_and_b32_e32 v9, 0xff00, v7
	v_and_b32_e32 v14, 0xff0000, v7
	v_or_b32_sdwa v9, v7, v9 dst_sel:DWORD dst_unused:UNUSED_PAD src0_sel:BYTE_0 src1_sel:DWORD
	v_and_b32_e32 v7, 0xff000000, v7
	v_or3_b32 v7, v9, v14, v7
	s_waitcnt lgkmcnt(0)
	v_or3_b32 v6, v6, 0, 0
	v_add_f64 v[0:1], v[0:1], v[6:7]
	v_xor_b32_e32 v6, 2, v10
	v_cmp_lt_i32_e32 vcc, v6, v8
	v_cndmask_b32_e32 v6, v10, v6, vcc
	v_lshlrev_b32_e32 v6, 2, v6
	ds_bpermute_b32 v7, v6, v1
	ds_bpermute_b32 v6, v6, v0
	s_waitcnt lgkmcnt(1)
	v_and_b32_e32 v9, 0xff00, v7
	v_and_b32_e32 v14, 0xff0000, v7
	v_or_b32_sdwa v9, v7, v9 dst_sel:DWORD dst_unused:UNUSED_PAD src0_sel:BYTE_0 src1_sel:DWORD
	v_and_b32_e32 v7, 0xff000000, v7
	v_or3_b32 v7, v9, v14, v7
	s_waitcnt lgkmcnt(0)
	v_or3_b32 v6, v6, 0, 0
	v_add_f64 v[0:1], v[0:1], v[6:7]
	v_xor_b32_e32 v6, 4, v10
	v_cmp_lt_i32_e32 vcc, v6, v8
	v_cndmask_b32_e32 v6, v10, v6, vcc
	v_lshlrev_b32_e32 v6, 2, v6
	;; [unrolled: 15-line block ×3, first 2 shown]
	ds_bpermute_b32 v7, v6, v1
	ds_bpermute_b32 v6, v6, v0
	s_waitcnt lgkmcnt(1)
	v_and_b32_e32 v8, 0xff00, v7
	v_and_b32_e32 v9, 0xff0000, v7
	v_or_b32_sdwa v8, v7, v8 dst_sel:DWORD dst_unused:UNUSED_PAD src0_sel:BYTE_0 src1_sel:DWORD
	v_and_b32_e32 v7, 0xff000000, v7
	v_or3_b32 v7, v8, v9, v7
	s_waitcnt lgkmcnt(0)
	v_or3_b32 v6, v6, 0, 0
	v_add_f64 v[0:1], v[0:1], v[6:7]
.LBB12_14:
	s_or_b64 exec, exec, s[4:5]
	s_barrier
.LBB12_15:
	s_mul_i32 s0, s20, s0
	s_mul_i32 s4, s21, s20
	s_add_i32 s0, s0, s6
	s_mul_i32 s5, s4, s8
	s_add_i32 s0, s0, s5
	s_waitcnt lgkmcnt(0)
	s_mul_i32 s6, s1, s4
	s_ashr_i32 s1, s0, 31
	s_lshr_b32 s1, s1, 27
	s_add_i32 s8, s0, s1
	s_and_b32 s1, s8, 0xffffffe0
	s_sub_i32 s4, s0, s1
	s_ashr_i32 s0, s6, 31
	s_lshr_b32 s0, s0, 27
	s_add_i32 s0, s6, s0
	s_ashr_i32 s5, s0, 5
	s_andn2_b32 s0, s0, 31
	s_sub_i32 s0, s6, s0
	s_cmp_lt_i32 s4, s0
	s_cselect_b64 s[0:1], -1, 0
	s_cmp_lg_u64 s[0:1], 0
	s_addc_u32 s5, s5, 0
	s_cmp_gt_u32 s5, 1
	v_cmp_eq_u32_e64 s[0:1], 0, v11
	s_cbranch_scc0 .LBB12_36
; %bb.16:
	s_add_i32 s6, s6, 31
	s_ashr_i32 s7, s6, 31
	s_lshr_b32 s7, s7, 27
	s_add_i32 s6, s6, s7
	s_ashr_i32 s20, s6, 5
	s_mul_i32 s20, s20, s4
	s_and_saveexec_b64 s[6:7], s[0:1]
	s_cbranch_execz .LBB12_18
; %bb.17:
	s_ashr_i32 s9, s8, 5
	s_add_i32 s24, s20, s9
	s_ashr_i32 s25, s24, 31
	s_lshl_b32 s8, s4, 3
	s_lshl_b64 s[24:25], s[24:25], 3
	s_add_u32 s24, s22, s24
	s_addc_u32 s25, s23, s25
	s_ashr_i32 s9, s8, 31
	s_lshl_b64 s[8:9], s[8:9], 2
	s_add_u32 s8, s18, s8
	v_pk_mov_b32 v[6:7], s[24:25], s[24:25] op_sel:[0,1]
	s_addc_u32 s9, s19, s9
	s_add_i32 s18, s5, -1
	flat_store_dwordx2 v[6:7], v[0:1]
	v_mov_b32_e32 v6, 0
	v_mov_b32_e32 v7, s18
	s_waitcnt vmcnt(0) lgkmcnt(0)
	global_atomic_inc v7, v6, v7, s[8:9] glc
	s_waitcnt vmcnt(0)
	v_cmp_eq_u32_e32 vcc, s18, v7
	v_cndmask_b32_e64 v7, 0, 1, vcc
	ds_write_b8 v6, v7 offset:128
.LBB12_18:
	s_or_b64 exec, exec, s[6:7]
	v_mov_b32_e32 v6, 0
	s_waitcnt lgkmcnt(0)
	s_barrier
	ds_read_u8 v6, v6 offset:128
	s_mov_b64 s[6:7], 0
	s_waitcnt lgkmcnt(0)
	v_cmp_eq_u32_e32 vcc, 0, v6
	v_pk_mov_b32 v[6:7], v[2:3], v[2:3] op_sel:[0,1]
	s_cbranch_vccnz .LBB12_35
; %bb.19:
	v_cmp_gt_u32_e32 vcc, s5, v11
	v_pk_mov_b32 v[6:7], s[16:17], s[16:17] op_sel:[0,1]
	s_and_saveexec_b64 s[6:7], vcc
	s_cbranch_execz .LBB12_23
; %bb.20:
	s_mov_b64 s[8:9], 0
	v_pk_mov_b32 v[6:7], s[16:17], s[16:17] op_sel:[0,1]
	v_mov_b32_e32 v9, 0
	v_mov_b32_e32 v14, s23
	;; [unrolled: 1-line block ×3, first 2 shown]
.LBB12_21:                              ; =>This Inner Loop Header: Depth=1
	v_add_u32_e32 v8, s20, v15
	v_lshlrev_b64 v[16:17], 3, v[8:9]
	v_add_co_u32_e32 v16, vcc, s22, v16
	v_addc_co_u32_e32 v17, vcc, v14, v17, vcc
	flat_load_dwordx2 v[16:17], v[16:17] glc
	v_add_u32_e32 v15, s2, v15
	v_cmp_le_u32_e32 vcc, s5, v15
	s_or_b64 s[8:9], vcc, s[8:9]
	s_waitcnt vmcnt(0) lgkmcnt(0)
	v_add_f64 v[6:7], v[6:7], v[16:17]
	s_andn2_b64 exec, exec, s[8:9]
	s_cbranch_execnz .LBB12_21
; %bb.22:
	s_or_b64 exec, exec, s[8:9]
.LBB12_23:
	s_or_b64 exec, exec, s[6:7]
	s_andn2_b64 vcc, exec, s[10:11]
	s_cbranch_vccnz .LBB12_41
; %bb.24:
	v_and_b32_e32 v16, 64, v10
	v_xor_b32_e32 v14, 1, v11
	v_and_or_b32 v8, v14, 63, v16
	v_lshlrev_b32_e32 v8, 2, v8
	ds_bpermute_b32 v9, v8, v7
	ds_bpermute_b32 v8, v8, v6
	v_cmp_gt_i32_e32 vcc, s2, v14
	s_waitcnt lgkmcnt(1)
	v_and_b32_e32 v15, 0xff00, v9
	v_and_b32_e32 v17, 0xff0000, v9
	;; [unrolled: 1-line block ×3, first 2 shown]
	v_or_b32_sdwa v9, v9, v15 dst_sel:DWORD dst_unused:UNUSED_PAD src0_sel:BYTE_0 src1_sel:DWORD
	v_or3_b32 v9, v9, v17, v18
	s_waitcnt lgkmcnt(0)
	v_or3_b32 v8, v8, 0, 0
	v_xor_b32_e32 v17, 2, v11
	v_add_f64 v[8:9], v[6:7], v[8:9]
	v_and_or_b32 v14, v17, 63, v16
	v_cndmask_b32_e32 v9, v7, v9, vcc
	v_lshlrev_b32_e32 v14, 2, v14
	ds_bpermute_b32 v15, v14, v9
	v_cndmask_b32_e32 v8, v6, v8, vcc
	ds_bpermute_b32 v14, v14, v8
	v_cmp_gt_i32_e32 vcc, s2, v17
	v_xor_b32_e32 v17, 4, v11
	s_waitcnt lgkmcnt(1)
	v_and_b32_e32 v18, 0xff00, v15
	v_and_b32_e32 v19, 0xff0000, v15
	v_or_b32_sdwa v18, v15, v18 dst_sel:DWORD dst_unused:UNUSED_PAD src0_sel:BYTE_0 src1_sel:DWORD
	v_and_b32_e32 v15, 0xff000000, v15
	v_or3_b32 v15, v18, v19, v15
	s_waitcnt lgkmcnt(0)
	v_or3_b32 v14, v14, 0, 0
	v_add_f64 v[14:15], v[8:9], v[14:15]
	v_cndmask_b32_e32 v9, v9, v15, vcc
	v_and_or_b32 v15, v17, 63, v16
	v_lshlrev_b32_e32 v15, 2, v15
	ds_bpermute_b32 v18, v15, v9
	v_cndmask_b32_e32 v8, v8, v14, vcc
	ds_bpermute_b32 v14, v15, v8
	v_cmp_gt_i32_e32 vcc, s2, v17
	v_xor_b32_e32 v17, 8, v11
	s_waitcnt lgkmcnt(1)
	v_and_b32_e32 v15, 0xff00, v18
	v_and_b32_e32 v19, 0xff0000, v18
	v_or_b32_sdwa v15, v18, v15 dst_sel:DWORD dst_unused:UNUSED_PAD src0_sel:BYTE_0 src1_sel:DWORD
	v_and_b32_e32 v18, 0xff000000, v18
	v_or3_b32 v15, v15, v19, v18
	s_waitcnt lgkmcnt(0)
	v_or3_b32 v14, v14, 0, 0
	v_add_f64 v[14:15], v[8:9], v[14:15]
	v_cndmask_b32_e32 v9, v9, v15, vcc
	v_and_or_b32 v15, v17, 63, v16
	;; [unrolled: 17-line block ×4, first 2 shown]
	v_lshlrev_b32_e32 v15, 2, v15
	ds_bpermute_b32 v16, v15, v9
	v_cndmask_b32_e32 v8, v8, v14, vcc
	ds_bpermute_b32 v14, v15, v8
	v_cmp_gt_i32_e32 vcc, s2, v17
	s_waitcnt lgkmcnt(1)
	v_and_b32_e32 v15, 0xff00, v16
	v_and_b32_e32 v18, 0xff0000, v16
	v_or_b32_sdwa v15, v16, v15 dst_sel:DWORD dst_unused:UNUSED_PAD src0_sel:BYTE_0 src1_sel:DWORD
	v_and_b32_e32 v16, 0xff000000, v16
	v_or3_b32 v15, v15, v18, v16
	s_waitcnt lgkmcnt(0)
	v_or3_b32 v14, v14, 0, 0
	v_add_f64 v[14:15], v[8:9], v[14:15]
	v_cndmask_b32_e32 v9, v9, v15, vcc
	v_cndmask_b32_e32 v8, v8, v14, vcc
	s_cbranch_execnz .LBB12_26
.LBB12_25:
	v_and_b32_e32 v8, 64, v10
	v_add_u32_e32 v14, 64, v8
	v_xor_b32_e32 v8, 1, v10
	v_cmp_lt_i32_e32 vcc, v8, v14
	v_cndmask_b32_e32 v8, v10, v8, vcc
	v_lshlrev_b32_e32 v8, 2, v8
	ds_bpermute_b32 v9, v8, v7
	ds_bpermute_b32 v8, v8, v6
	s_waitcnt lgkmcnt(1)
	v_and_b32_e32 v15, 0xff00, v9
	v_and_b32_e32 v16, 0xff0000, v9
	v_or_b32_sdwa v15, v9, v15 dst_sel:DWORD dst_unused:UNUSED_PAD src0_sel:BYTE_0 src1_sel:DWORD
	v_and_b32_e32 v9, 0xff000000, v9
	v_or3_b32 v9, v15, v16, v9
	s_waitcnt lgkmcnt(0)
	v_or3_b32 v8, v8, 0, 0
	v_add_f64 v[6:7], v[6:7], v[8:9]
	v_xor_b32_e32 v8, 2, v10
	v_cmp_lt_i32_e32 vcc, v8, v14
	v_cndmask_b32_e32 v8, v10, v8, vcc
	v_lshlrev_b32_e32 v8, 2, v8
	ds_bpermute_b32 v9, v8, v7
	ds_bpermute_b32 v8, v8, v6
	s_waitcnt lgkmcnt(1)
	v_and_b32_e32 v15, 0xff00, v9
	v_and_b32_e32 v16, 0xff0000, v9
	v_or_b32_sdwa v15, v9, v15 dst_sel:DWORD dst_unused:UNUSED_PAD src0_sel:BYTE_0 src1_sel:DWORD
	v_and_b32_e32 v9, 0xff000000, v9
	v_or3_b32 v9, v15, v16, v9
	s_waitcnt lgkmcnt(0)
	v_or3_b32 v8, v8, 0, 0
	v_add_f64 v[6:7], v[6:7], v[8:9]
	;; [unrolled: 15-line block ×6, first 2 shown]
.LBB12_26:
	s_andn2_b64 vcc, exec, s[12:13]
	s_cbranch_vccnz .LBB12_34
; %bb.27:
	v_cmp_eq_u32_e32 vcc, 0, v4
	s_and_saveexec_b64 s[6:7], vcc
	s_cbranch_execz .LBB12_29
; %bb.28:
	v_lshlrev_b32_e32 v6, 3, v13
	ds_write_b64 v6, v[8:9]
.LBB12_29:
	s_or_b64 exec, exec, s[6:7]
	v_add_co_u32_e32 v6, vcc, 63, v11
	v_addc_co_u32_e32 v7, vcc, 0, v12, vcc
	s_mov_b64 s[6:7], 0x7f
	v_cmp_gt_u64_e32 vcc, s[6:7], v[6:7]
	s_waitcnt lgkmcnt(0)
	s_barrier
	s_and_saveexec_b64 s[6:7], vcc
	s_cbranch_execz .LBB12_33
; %bb.30:
	v_lshlrev_b64 v[6:7], 6, v[4:5]
	v_cmp_gt_i64_e32 vcc, s[2:3], v[6:7]
	v_pk_mov_b32 v[6:7], s[16:17], s[16:17] op_sel:[0,1]
	s_and_saveexec_b64 s[2:3], vcc
	s_cbranch_execz .LBB12_32
; %bb.31:
	v_lshlrev_b32_e32 v4, 3, v4
	ds_read_b64 v[6:7], v4
.LBB12_32:
	s_or_b64 exec, exec, s[2:3]
	v_and_b32_e32 v4, 64, v10
	v_add_u32_e32 v8, 64, v4
	v_xor_b32_e32 v4, 1, v10
	v_cmp_lt_i32_e32 vcc, v4, v8
	v_cndmask_b32_e32 v4, v10, v4, vcc
	v_lshlrev_b32_e32 v4, 2, v4
	s_waitcnt lgkmcnt(0)
	ds_bpermute_b32 v5, v4, v7
	ds_bpermute_b32 v4, v4, v6
	s_waitcnt lgkmcnt(1)
	v_and_b32_e32 v9, 0xff00, v5
	v_and_b32_e32 v11, 0xff0000, v5
	v_or_b32_sdwa v9, v5, v9 dst_sel:DWORD dst_unused:UNUSED_PAD src0_sel:BYTE_0 src1_sel:DWORD
	v_and_b32_e32 v5, 0xff000000, v5
	v_or3_b32 v5, v9, v11, v5
	s_waitcnt lgkmcnt(0)
	v_or3_b32 v4, v4, 0, 0
	v_add_f64 v[4:5], v[6:7], v[4:5]
	v_xor_b32_e32 v6, 2, v10
	v_cmp_lt_i32_e32 vcc, v6, v8
	v_cndmask_b32_e32 v6, v10, v6, vcc
	v_lshlrev_b32_e32 v6, 2, v6
	ds_bpermute_b32 v7, v6, v5
	ds_bpermute_b32 v6, v6, v4
	s_waitcnt lgkmcnt(1)
	v_and_b32_e32 v9, 0xff00, v7
	v_and_b32_e32 v11, 0xff0000, v7
	v_or_b32_sdwa v9, v7, v9 dst_sel:DWORD dst_unused:UNUSED_PAD src0_sel:BYTE_0 src1_sel:DWORD
	v_and_b32_e32 v7, 0xff000000, v7
	v_or3_b32 v7, v9, v11, v7
	s_waitcnt lgkmcnt(0)
	v_or3_b32 v6, v6, 0, 0
	v_add_f64 v[4:5], v[4:5], v[6:7]
	v_xor_b32_e32 v6, 4, v10
	v_cmp_lt_i32_e32 vcc, v6, v8
	v_cndmask_b32_e32 v6, v10, v6, vcc
	v_lshlrev_b32_e32 v6, 2, v6
	;; [unrolled: 15-line block ×3, first 2 shown]
	ds_bpermute_b32 v7, v6, v5
	ds_bpermute_b32 v6, v6, v4
	s_waitcnt lgkmcnt(1)
	v_and_b32_e32 v8, 0xff00, v7
	v_and_b32_e32 v9, 0xff0000, v7
	v_or_b32_sdwa v8, v7, v8 dst_sel:DWORD dst_unused:UNUSED_PAD src0_sel:BYTE_0 src1_sel:DWORD
	v_and_b32_e32 v7, 0xff000000, v7
	v_or3_b32 v7, v8, v9, v7
	s_waitcnt lgkmcnt(0)
	v_or3_b32 v6, v6, 0, 0
	v_add_f64 v[8:9], v[4:5], v[6:7]
.LBB12_33:
	s_or_b64 exec, exec, s[6:7]
	s_barrier
.LBB12_34:
	v_mov_b32_e32 v4, 0
	ds_read_u8 v4, v4 offset:128
	v_cndmask_b32_e64 v7, v3, v9, s[0:1]
	v_cndmask_b32_e64 v6, v2, v8, s[0:1]
	s_waitcnt lgkmcnt(0)
	v_and_b32_e32 v4, 1, v4
	v_cmp_eq_u32_e64 s[6:7], 1, v4
.LBB12_35:
	s_and_b64 s[2:3], s[0:1], s[6:7]
	s_branch .LBB12_38
.LBB12_36:
                                        ; implicit-def: $sgpr2_sgpr3
                                        ; implicit-def: $vgpr6_vgpr7
	s_cbranch_execz .LBB12_38
; %bb.37:
	v_cndmask_b32_e64 v7, v3, v1, s[0:1]
	v_cndmask_b32_e64 v6, v2, v0, s[0:1]
	s_andn2_b64 s[2:3], s[2:3], exec
	s_and_b64 s[0:1], s[0:1], exec
	s_or_b64 s[2:3], s[2:3], s[0:1]
.LBB12_38:
	s_and_saveexec_b64 s[0:1], s[2:3]
	s_cbranch_execz .LBB12_3
; %bb.39:
	s_ashr_i32 s5, s4, 31
	s_lshl_b64 s[0:1], s[4:5], 3
	s_add_u32 s0, s14, s0
	s_addc_u32 s1, s15, s1
	v_pk_mov_b32 v[0:1], s[0:1], s[0:1] op_sel:[0,1]
	flat_store_dwordx2 v[0:1], v[6:7]
	s_endpgm
.LBB12_40:
                                        ; implicit-def: $vgpr0_vgpr1
	s_load_dwordx2 s[22:23], s[4:5], 0x28
	s_branch .LBB12_6
.LBB12_41:
                                        ; implicit-def: $vgpr8_vgpr9
	s_branch .LBB12_25
	.section	.rodata,"a",@progbits
	.p2align	6, 0x0
	.amdhsa_kernel _ZN4RAJA6policy3hip4impl18forallp_hip_kernelINS1_8hip_execINS_17iteration_mapping6DirectENS_3hip11IndexGlobalILNS_9named_dimE0ELi256ELi0EEENS7_40AvoidDeviceMaxThreadOccupancyConcretizerINS7_34FractionOffsetOccupancyConcretizerINS_8FractionImLm1ELm1EEELln1EEEEELb1EEENS_9Iterators16numeric_iteratorIllPlEEZN8rajaperf9algorithm10REDUCE_SUM17runHipVariantRAJAILm256ENSM_13gpu_algorithm19block_device_helperENSM_11gpu_mapping20global_direct_helperEEEvNSM_9VariantIDEEUllE_lNS_4expt15ForallParamPackIJEEES6_SA_TnNSt9enable_ifIXaasr3std10is_base_ofINS5_10DirectBaseET4_EE5valuegtsrT5_10block_sizeLi0EEmE4typeELm256EEEvT1_T0_T2_T3_
		.amdhsa_group_segment_fixed_size 129
		.amdhsa_private_segment_fixed_size 0
		.amdhsa_kernarg_size 344
		.amdhsa_user_sgpr_count 6
		.amdhsa_user_sgpr_private_segment_buffer 1
		.amdhsa_user_sgpr_dispatch_ptr 0
		.amdhsa_user_sgpr_queue_ptr 0
		.amdhsa_user_sgpr_kernarg_segment_ptr 1
		.amdhsa_user_sgpr_dispatch_id 0
		.amdhsa_user_sgpr_flat_scratch_init 0
		.amdhsa_user_sgpr_kernarg_preload_length 0
		.amdhsa_user_sgpr_kernarg_preload_offset 0
		.amdhsa_user_sgpr_private_segment_size 0
		.amdhsa_uses_dynamic_stack 0
		.amdhsa_system_sgpr_private_segment_wavefront_offset 0
		.amdhsa_system_sgpr_workgroup_id_x 1
		.amdhsa_system_sgpr_workgroup_id_y 1
		.amdhsa_system_sgpr_workgroup_id_z 1
		.amdhsa_system_sgpr_workgroup_info 0
		.amdhsa_system_vgpr_workitem_id 2
		.amdhsa_next_free_vgpr 20
		.amdhsa_next_free_sgpr 26
		.amdhsa_accum_offset 20
		.amdhsa_reserve_vcc 1
		.amdhsa_reserve_flat_scratch 0
		.amdhsa_float_round_mode_32 0
		.amdhsa_float_round_mode_16_64 0
		.amdhsa_float_denorm_mode_32 3
		.amdhsa_float_denorm_mode_16_64 3
		.amdhsa_dx10_clamp 1
		.amdhsa_ieee_mode 1
		.amdhsa_fp16_overflow 0
		.amdhsa_tg_split 0
		.amdhsa_exception_fp_ieee_invalid_op 0
		.amdhsa_exception_fp_denorm_src 0
		.amdhsa_exception_fp_ieee_div_zero 0
		.amdhsa_exception_fp_ieee_overflow 0
		.amdhsa_exception_fp_ieee_underflow 0
		.amdhsa_exception_fp_ieee_inexact 0
		.amdhsa_exception_int_div_zero 0
	.end_amdhsa_kernel
	.section	.text._ZN4RAJA6policy3hip4impl18forallp_hip_kernelINS1_8hip_execINS_17iteration_mapping6DirectENS_3hip11IndexGlobalILNS_9named_dimE0ELi256ELi0EEENS7_40AvoidDeviceMaxThreadOccupancyConcretizerINS7_34FractionOffsetOccupancyConcretizerINS_8FractionImLm1ELm1EEELln1EEEEELb1EEENS_9Iterators16numeric_iteratorIllPlEEZN8rajaperf9algorithm10REDUCE_SUM17runHipVariantRAJAILm256ENSM_13gpu_algorithm19block_device_helperENSM_11gpu_mapping20global_direct_helperEEEvNSM_9VariantIDEEUllE_lNS_4expt15ForallParamPackIJEEES6_SA_TnNSt9enable_ifIXaasr3std10is_base_ofINS5_10DirectBaseET4_EE5valuegtsrT5_10block_sizeLi0EEmE4typeELm256EEEvT1_T0_T2_T3_,"axG",@progbits,_ZN4RAJA6policy3hip4impl18forallp_hip_kernelINS1_8hip_execINS_17iteration_mapping6DirectENS_3hip11IndexGlobalILNS_9named_dimE0ELi256ELi0EEENS7_40AvoidDeviceMaxThreadOccupancyConcretizerINS7_34FractionOffsetOccupancyConcretizerINS_8FractionImLm1ELm1EEELln1EEEEELb1EEENS_9Iterators16numeric_iteratorIllPlEEZN8rajaperf9algorithm10REDUCE_SUM17runHipVariantRAJAILm256ENSM_13gpu_algorithm19block_device_helperENSM_11gpu_mapping20global_direct_helperEEEvNSM_9VariantIDEEUllE_lNS_4expt15ForallParamPackIJEEES6_SA_TnNSt9enable_ifIXaasr3std10is_base_ofINS5_10DirectBaseET4_EE5valuegtsrT5_10block_sizeLi0EEmE4typeELm256EEEvT1_T0_T2_T3_,comdat
.Lfunc_end12:
	.size	_ZN4RAJA6policy3hip4impl18forallp_hip_kernelINS1_8hip_execINS_17iteration_mapping6DirectENS_3hip11IndexGlobalILNS_9named_dimE0ELi256ELi0EEENS7_40AvoidDeviceMaxThreadOccupancyConcretizerINS7_34FractionOffsetOccupancyConcretizerINS_8FractionImLm1ELm1EEELln1EEEEELb1EEENS_9Iterators16numeric_iteratorIllPlEEZN8rajaperf9algorithm10REDUCE_SUM17runHipVariantRAJAILm256ENSM_13gpu_algorithm19block_device_helperENSM_11gpu_mapping20global_direct_helperEEEvNSM_9VariantIDEEUllE_lNS_4expt15ForallParamPackIJEEES6_SA_TnNSt9enable_ifIXaasr3std10is_base_ofINS5_10DirectBaseET4_EE5valuegtsrT5_10block_sizeLi0EEmE4typeELm256EEEvT1_T0_T2_T3_, .Lfunc_end12-_ZN4RAJA6policy3hip4impl18forallp_hip_kernelINS1_8hip_execINS_17iteration_mapping6DirectENS_3hip11IndexGlobalILNS_9named_dimE0ELi256ELi0EEENS7_40AvoidDeviceMaxThreadOccupancyConcretizerINS7_34FractionOffsetOccupancyConcretizerINS_8FractionImLm1ELm1EEELln1EEEEELb1EEENS_9Iterators16numeric_iteratorIllPlEEZN8rajaperf9algorithm10REDUCE_SUM17runHipVariantRAJAILm256ENSM_13gpu_algorithm19block_device_helperENSM_11gpu_mapping20global_direct_helperEEEvNSM_9VariantIDEEUllE_lNS_4expt15ForallParamPackIJEEES6_SA_TnNSt9enable_ifIXaasr3std10is_base_ofINS5_10DirectBaseET4_EE5valuegtsrT5_10block_sizeLi0EEmE4typeELm256EEEvT1_T0_T2_T3_
                                        ; -- End function
	.section	.AMDGPU.csdata,"",@progbits
; Kernel info:
; codeLenInByte = 4464
; NumSgprs: 30
; NumVgprs: 20
; NumAgprs: 0
; TotalNumVgprs: 20
; ScratchSize: 0
; MemoryBound: 0
; FloatMode: 240
; IeeeMode: 1
; LDSByteSize: 129 bytes/workgroup (compile time only)
; SGPRBlocks: 3
; VGPRBlocks: 2
; NumSGPRsForWavesPerEU: 30
; NumVGPRsForWavesPerEU: 20
; AccumOffset: 20
; Occupancy: 8
; WaveLimiterHint : 0
; COMPUTE_PGM_RSRC2:SCRATCH_EN: 0
; COMPUTE_PGM_RSRC2:USER_SGPR: 6
; COMPUTE_PGM_RSRC2:TRAP_HANDLER: 0
; COMPUTE_PGM_RSRC2:TGID_X_EN: 1
; COMPUTE_PGM_RSRC2:TGID_Y_EN: 1
; COMPUTE_PGM_RSRC2:TGID_Z_EN: 1
; COMPUTE_PGM_RSRC2:TIDIG_COMP_CNT: 2
; COMPUTE_PGM_RSRC3_GFX90A:ACCUM_OFFSET: 4
; COMPUTE_PGM_RSRC3_GFX90A:TG_SPLIT: 0
	.section	.text._ZN4RAJA6policy3hip4impl18forallp_hip_kernelINS1_8hip_execINS_17iteration_mapping6DirectENS_3hip11IndexGlobalILNS_9named_dimE0ELi256ELi0EEENS7_40AvoidDeviceMaxThreadOccupancyConcretizerINS7_34FractionOffsetOccupancyConcretizerINS_8FractionImLm1ELm1EEELln1EEEEELb1EEENS_9Iterators16numeric_iteratorIllPlEEZN8rajaperf9algorithm10REDUCE_SUM26runHipVariantRAJANewReduceILm256ENSM_11gpu_mapping20global_direct_helperEEEvNSM_9VariantIDEEUllRNS_4expt5ValOpIdNS_9operators4plusEEEE_lNST_15ForallParamPackIJNST_6detail7ReducerINSW_IdddEEdSX_EEEEES6_SA_TnNSt9enable_ifIXaasr3std10is_base_ofINS5_10DirectBaseET4_EE5valuegtsrT5_10block_sizeLi0EEmE4typeELm256EEEvT1_T0_T2_T3_,"axG",@progbits,_ZN4RAJA6policy3hip4impl18forallp_hip_kernelINS1_8hip_execINS_17iteration_mapping6DirectENS_3hip11IndexGlobalILNS_9named_dimE0ELi256ELi0EEENS7_40AvoidDeviceMaxThreadOccupancyConcretizerINS7_34FractionOffsetOccupancyConcretizerINS_8FractionImLm1ELm1EEELln1EEEEELb1EEENS_9Iterators16numeric_iteratorIllPlEEZN8rajaperf9algorithm10REDUCE_SUM26runHipVariantRAJANewReduceILm256ENSM_11gpu_mapping20global_direct_helperEEEvNSM_9VariantIDEEUllRNS_4expt5ValOpIdNS_9operators4plusEEEE_lNST_15ForallParamPackIJNST_6detail7ReducerINSW_IdddEEdSX_EEEEES6_SA_TnNSt9enable_ifIXaasr3std10is_base_ofINS5_10DirectBaseET4_EE5valuegtsrT5_10block_sizeLi0EEmE4typeELm256EEEvT1_T0_T2_T3_,comdat
	.protected	_ZN4RAJA6policy3hip4impl18forallp_hip_kernelINS1_8hip_execINS_17iteration_mapping6DirectENS_3hip11IndexGlobalILNS_9named_dimE0ELi256ELi0EEENS7_40AvoidDeviceMaxThreadOccupancyConcretizerINS7_34FractionOffsetOccupancyConcretizerINS_8FractionImLm1ELm1EEELln1EEEEELb1EEENS_9Iterators16numeric_iteratorIllPlEEZN8rajaperf9algorithm10REDUCE_SUM26runHipVariantRAJANewReduceILm256ENSM_11gpu_mapping20global_direct_helperEEEvNSM_9VariantIDEEUllRNS_4expt5ValOpIdNS_9operators4plusEEEE_lNST_15ForallParamPackIJNST_6detail7ReducerINSW_IdddEEdSX_EEEEES6_SA_TnNSt9enable_ifIXaasr3std10is_base_ofINS5_10DirectBaseET4_EE5valuegtsrT5_10block_sizeLi0EEmE4typeELm256EEEvT1_T0_T2_T3_ ; -- Begin function _ZN4RAJA6policy3hip4impl18forallp_hip_kernelINS1_8hip_execINS_17iteration_mapping6DirectENS_3hip11IndexGlobalILNS_9named_dimE0ELi256ELi0EEENS7_40AvoidDeviceMaxThreadOccupancyConcretizerINS7_34FractionOffsetOccupancyConcretizerINS_8FractionImLm1ELm1EEELln1EEEEELb1EEENS_9Iterators16numeric_iteratorIllPlEEZN8rajaperf9algorithm10REDUCE_SUM26runHipVariantRAJANewReduceILm256ENSM_11gpu_mapping20global_direct_helperEEEvNSM_9VariantIDEEUllRNS_4expt5ValOpIdNS_9operators4plusEEEE_lNST_15ForallParamPackIJNST_6detail7ReducerINSW_IdddEEdSX_EEEEES6_SA_TnNSt9enable_ifIXaasr3std10is_base_ofINS5_10DirectBaseET4_EE5valuegtsrT5_10block_sizeLi0EEmE4typeELm256EEEvT1_T0_T2_T3_
	.globl	_ZN4RAJA6policy3hip4impl18forallp_hip_kernelINS1_8hip_execINS_17iteration_mapping6DirectENS_3hip11IndexGlobalILNS_9named_dimE0ELi256ELi0EEENS7_40AvoidDeviceMaxThreadOccupancyConcretizerINS7_34FractionOffsetOccupancyConcretizerINS_8FractionImLm1ELm1EEELln1EEEEELb1EEENS_9Iterators16numeric_iteratorIllPlEEZN8rajaperf9algorithm10REDUCE_SUM26runHipVariantRAJANewReduceILm256ENSM_11gpu_mapping20global_direct_helperEEEvNSM_9VariantIDEEUllRNS_4expt5ValOpIdNS_9operators4plusEEEE_lNST_15ForallParamPackIJNST_6detail7ReducerINSW_IdddEEdSX_EEEEES6_SA_TnNSt9enable_ifIXaasr3std10is_base_ofINS5_10DirectBaseET4_EE5valuegtsrT5_10block_sizeLi0EEmE4typeELm256EEEvT1_T0_T2_T3_
	.p2align	8
	.type	_ZN4RAJA6policy3hip4impl18forallp_hip_kernelINS1_8hip_execINS_17iteration_mapping6DirectENS_3hip11IndexGlobalILNS_9named_dimE0ELi256ELi0EEENS7_40AvoidDeviceMaxThreadOccupancyConcretizerINS7_34FractionOffsetOccupancyConcretizerINS_8FractionImLm1ELm1EEELln1EEEEELb1EEENS_9Iterators16numeric_iteratorIllPlEEZN8rajaperf9algorithm10REDUCE_SUM26runHipVariantRAJANewReduceILm256ENSM_11gpu_mapping20global_direct_helperEEEvNSM_9VariantIDEEUllRNS_4expt5ValOpIdNS_9operators4plusEEEE_lNST_15ForallParamPackIJNST_6detail7ReducerINSW_IdddEEdSX_EEEEES6_SA_TnNSt9enable_ifIXaasr3std10is_base_ofINS5_10DirectBaseET4_EE5valuegtsrT5_10block_sizeLi0EEmE4typeELm256EEEvT1_T0_T2_T3_,@function
_ZN4RAJA6policy3hip4impl18forallp_hip_kernelINS1_8hip_execINS_17iteration_mapping6DirectENS_3hip11IndexGlobalILNS_9named_dimE0ELi256ELi0EEENS7_40AvoidDeviceMaxThreadOccupancyConcretizerINS7_34FractionOffsetOccupancyConcretizerINS_8FractionImLm1ELm1EEELln1EEEEELb1EEENS_9Iterators16numeric_iteratorIllPlEEZN8rajaperf9algorithm10REDUCE_SUM26runHipVariantRAJANewReduceILm256ENSM_11gpu_mapping20global_direct_helperEEEvNSM_9VariantIDEEUllRNS_4expt5ValOpIdNS_9operators4plusEEEE_lNST_15ForallParamPackIJNST_6detail7ReducerINSW_IdddEEdSX_EEEEES6_SA_TnNSt9enable_ifIXaasr3std10is_base_ofINS5_10DirectBaseET4_EE5valuegtsrT5_10block_sizeLi0EEmE4typeELm256EEEvT1_T0_T2_T3_: ; @_ZN4RAJA6policy3hip4impl18forallp_hip_kernelINS1_8hip_execINS_17iteration_mapping6DirectENS_3hip11IndexGlobalILNS_9named_dimE0ELi256ELi0EEENS7_40AvoidDeviceMaxThreadOccupancyConcretizerINS7_34FractionOffsetOccupancyConcretizerINS_8FractionImLm1ELm1EEELln1EEEEELb1EEENS_9Iterators16numeric_iteratorIllPlEEZN8rajaperf9algorithm10REDUCE_SUM26runHipVariantRAJANewReduceILm256ENSM_11gpu_mapping20global_direct_helperEEEvNSM_9VariantIDEEUllRNS_4expt5ValOpIdNS_9operators4plusEEEE_lNST_15ForallParamPackIJNST_6detail7ReducerINSW_IdddEEdSX_EEEEES6_SA_TnNSt9enable_ifIXaasr3std10is_base_ofINS5_10DirectBaseET4_EE5valuegtsrT5_10block_sizeLi0EEmE4typeELm256EEEvT1_T0_T2_T3_
; %bb.0:
	s_load_dwordx8 s[8:15], s[4:5], 0x0
	s_mov_b32 s7, 0
	v_and_b32_e32 v2, 0x3ff, v0
	s_lshl_b64 s[0:1], s[6:7], 8
	v_or_b32_e32 v6, s0, v2
	v_mov_b32_e32 v7, s1
	s_waitcnt lgkmcnt(0)
	v_cmp_gt_i64_e32 vcc, s[12:13], v[6:7]
	v_pk_mov_b32 v[4:5], s[14:15], s[14:15] op_sel:[0,1]
	s_and_saveexec_b64 s[0:1], vcc
	s_cbranch_execz .LBB13_2
; %bb.1:
	s_lshl_b64 s[2:3], s[10:11], 3
	s_add_u32 s2, s2, s8
	v_lshlrev_b64 v[4:5], 3, v[6:7]
	s_addc_u32 s3, s3, s9
	v_mov_b32_e32 v1, s3
	v_add_co_u32_e32 v4, vcc, s2, v4
	v_addc_co_u32_e32 v5, vcc, v1, v5, vcc
	global_load_dwordx2 v[4:5], v[4:5], off
	s_waitcnt vmcnt(0)
	v_add_f64 v[4:5], s[14:15], v[4:5]
.LBB13_2:
	s_or_b64 exec, exec, s[0:1]
	v_mbcnt_lo_u32_b32 v1, -1, 0
	v_mbcnt_hi_u32_b32 v12, -1, v1
	v_and_b32_e32 v1, 64, v12
	v_add_u32_e32 v1, 64, v1
	v_xor_b32_e32 v3, 1, v12
	v_cmp_lt_i32_e32 vcc, v3, v1
	v_cndmask_b32_e32 v3, v12, v3, vcc
	v_lshlrev_b32_e32 v3, 2, v3
	ds_bpermute_b32 v6, v3, v5
	ds_bpermute_b32 v8, v3, v4
	s_load_dwordx4 s[8:11], s[4:5], 0x28
	s_load_dwordx2 s[12:13], s[4:5], 0x38
	s_add_u32 s14, s4, 64
	s_addc_u32 s15, s5, 0
	s_waitcnt lgkmcnt(0)
	v_and_b32_e32 v7, 0xff00, v6
	v_and_b32_e32 v9, 0xff0000, v6
	v_or_b32_sdwa v7, v6, v7 dst_sel:DWORD dst_unused:UNUSED_PAD src0_sel:BYTE_0 src1_sel:DWORD
	v_and_b32_e32 v6, 0xff000000, v6
	v_or3_b32 v7, v7, v9, v6
	v_or3_b32 v6, v8, 0, 0
	v_add_f64 v[4:5], v[4:5], v[6:7]
	v_xor_b32_e32 v6, 2, v12
	v_cmp_lt_i32_e32 vcc, v6, v1
	v_cndmask_b32_e32 v6, v12, v6, vcc
	v_lshlrev_b32_e32 v6, 2, v6
	ds_bpermute_b32 v7, v6, v5
	ds_bpermute_b32 v8, v6, v4
	s_waitcnt lgkmcnt(1)
	v_and_b32_e32 v9, 0xff00, v7
	v_and_b32_e32 v10, 0xff0000, v7
	v_or_b32_sdwa v9, v7, v9 dst_sel:DWORD dst_unused:UNUSED_PAD src0_sel:BYTE_0 src1_sel:DWORD
	v_and_b32_e32 v7, 0xff000000, v7
	v_or3_b32 v9, v9, v10, v7
	v_xor_b32_e32 v7, 4, v12
	v_cmp_lt_i32_e32 vcc, v7, v1
	s_waitcnt lgkmcnt(0)
	v_or3_b32 v8, v8, 0, 0
	v_cndmask_b32_e32 v7, v12, v7, vcc
	v_add_f64 v[4:5], v[4:5], v[8:9]
	v_lshlrev_b32_e32 v7, 2, v7
	ds_bpermute_b32 v8, v7, v5
	ds_bpermute_b32 v10, v7, v4
	s_waitcnt lgkmcnt(1)
	v_and_b32_e32 v9, 0xff00, v8
	v_and_b32_e32 v11, 0xff0000, v8
	v_or_b32_sdwa v9, v8, v9 dst_sel:DWORD dst_unused:UNUSED_PAD src0_sel:BYTE_0 src1_sel:DWORD
	v_and_b32_e32 v8, 0xff000000, v8
	v_or3_b32 v9, v9, v11, v8
	s_waitcnt lgkmcnt(0)
	v_or3_b32 v8, v10, 0, 0
	v_add_f64 v[4:5], v[4:5], v[8:9]
	v_xor_b32_e32 v8, 8, v12
	v_cmp_lt_i32_e32 vcc, v8, v1
	v_cndmask_b32_e32 v8, v12, v8, vcc
	v_lshlrev_b32_e32 v8, 2, v8
	ds_bpermute_b32 v9, v8, v5
	ds_bpermute_b32 v10, v8, v4
	s_waitcnt lgkmcnt(1)
	v_and_b32_e32 v11, 0xff00, v9
	v_and_b32_e32 v13, 0xff0000, v9
	v_or_b32_sdwa v11, v9, v11 dst_sel:DWORD dst_unused:UNUSED_PAD src0_sel:BYTE_0 src1_sel:DWORD
	v_and_b32_e32 v9, 0xff000000, v9
	v_or3_b32 v11, v11, v13, v9
	v_xor_b32_e32 v9, 16, v12
	v_cmp_lt_i32_e32 vcc, v9, v1
	s_waitcnt lgkmcnt(0)
	v_or3_b32 v10, v10, 0, 0
	v_cndmask_b32_e32 v9, v12, v9, vcc
	v_add_f64 v[4:5], v[4:5], v[10:11]
	v_lshlrev_b32_e32 v10, 2, v9
	ds_bpermute_b32 v9, v10, v5
	ds_bpermute_b32 v11, v10, v4
	s_waitcnt lgkmcnt(1)
	v_and_b32_e32 v13, 0xff00, v9
	v_and_b32_e32 v14, 0xff0000, v9
	v_or_b32_sdwa v13, v9, v13 dst_sel:DWORD dst_unused:UNUSED_PAD src0_sel:BYTE_0 src1_sel:DWORD
	v_and_b32_e32 v9, 0xff000000, v9
	v_or3_b32 v15, v13, v14, v9
	v_xor_b32_e32 v9, 32, v12
	v_cmp_lt_i32_e32 vcc, v9, v1
	s_waitcnt lgkmcnt(0)
	v_or3_b32 v14, v11, 0, 0
	v_cndmask_b32_e32 v1, v12, v9, vcc
	v_add_f64 v[4:5], v[4:5], v[14:15]
	v_lshlrev_b32_e32 v11, 2, v1
	ds_bpermute_b32 v1, v11, v5
	ds_bpermute_b32 v13, v11, v4
	v_and_b32_e32 v9, 63, v2
	v_cmp_eq_u32_e64 s[0:1], 0, v9
	s_waitcnt lgkmcnt(1)
	v_and_b32_e32 v14, 0xff00, v1
	v_and_b32_e32 v15, 0xff0000, v1
	v_or_b32_sdwa v14, v1, v14 dst_sel:DWORD dst_unused:UNUSED_PAD src0_sel:BYTE_0 src1_sel:DWORD
	v_and_b32_e32 v1, 0xff000000, v1
	v_or3_b32 v15, v14, v15, v1
	s_waitcnt lgkmcnt(0)
	v_or3_b32 v14, v13, 0, 0
	v_add_f64 v[4:5], v[4:5], v[14:15]
	s_and_saveexec_b64 s[2:3], s[0:1]
	s_cbranch_execz .LBB13_4
; %bb.3:
	v_lshrrev_b32_e32 v1, 3, v2
	ds_write_b64 v1, v[4:5] offset:256
.LBB13_4:
	s_or_b64 exec, exec, s[2:3]
	s_load_dword s18, s[4:5], 0x40
	v_cmp_gt_u32_e64 s[2:3], 64, v2
	s_waitcnt lgkmcnt(0)
	s_barrier
	s_and_saveexec_b64 s[4:5], s[2:3]
	s_cbranch_execz .LBB13_8
; %bb.5:
	v_cmp_gt_u32_e32 vcc, 4, v9
	v_pk_mov_b32 v[4:5], 0, 0
	s_and_saveexec_b64 s[16:17], vcc
	s_cbranch_execz .LBB13_7
; %bb.6:
	v_lshlrev_b32_e32 v1, 3, v9
	ds_read_b64 v[4:5], v1 offset:256
.LBB13_7:
	s_or_b64 exec, exec, s[16:17]
	s_waitcnt lgkmcnt(0)
	ds_bpermute_b32 v1, v3, v5
	ds_bpermute_b32 v13, v3, v4
	s_waitcnt lgkmcnt(1)
	v_and_b32_e32 v15, 0xff00, v1
	v_and_b32_e32 v16, 0xff0000, v1
	v_and_b32_e32 v17, 0xff000000, v1
	v_or_b32_sdwa v1, v1, v15 dst_sel:DWORD dst_unused:UNUSED_PAD src0_sel:BYTE_0 src1_sel:DWORD
	s_waitcnt lgkmcnt(0)
	v_or3_b32 v14, v13, 0, 0
	v_or3_b32 v15, v1, v16, v17
	v_add_f64 v[4:5], v[4:5], v[14:15]
	ds_bpermute_b32 v1, v6, v5
	ds_bpermute_b32 v13, v6, v4
	s_waitcnt lgkmcnt(1)
	v_and_b32_e32 v15, 0xff00, v1
	v_and_b32_e32 v16, 0xff0000, v1
	v_and_b32_e32 v17, 0xff000000, v1
	v_or_b32_sdwa v1, v1, v15 dst_sel:DWORD dst_unused:UNUSED_PAD src0_sel:BYTE_0 src1_sel:DWORD
	s_waitcnt lgkmcnt(0)
	v_or3_b32 v14, v13, 0, 0
	v_or3_b32 v15, v1, v16, v17
	v_add_f64 v[4:5], v[4:5], v[14:15]
	;; [unrolled: 11-line block ×3, first 2 shown]
	ds_bpermute_b32 v1, v8, v5
	ds_bpermute_b32 v13, v8, v4
	s_waitcnt lgkmcnt(1)
	v_and_b32_e32 v14, 0xff00, v1
	v_and_b32_e32 v15, 0xff0000, v1
	;; [unrolled: 1-line block ×3, first 2 shown]
	v_or_b32_sdwa v1, v1, v14 dst_sel:DWORD dst_unused:UNUSED_PAD src0_sel:BYTE_0 src1_sel:DWORD
	v_or3_b32 v15, v1, v15, v16
	s_waitcnt lgkmcnt(0)
	v_or3_b32 v14, v13, 0, 0
	v_add_f64 v[4:5], v[4:5], v[14:15]
.LBB13_8:
	s_or_b64 exec, exec, s[4:5]
	v_cmp_eq_u32_e64 s[4:5], 0, v2
	v_mov_b32_e32 v1, 0
	v_mov_b32_e32 v13, 0
	s_barrier
	s_and_saveexec_b64 s[16:17], s[4:5]
	s_cbranch_execz .LBB13_10
; %bb.9:
	s_ashr_i32 s7, s6, 31
	s_add_i32 s19, s18, -1
	s_lshl_b64 s[20:21], s[6:7], 3
	s_add_u32 s20, s10, s20
	v_mov_b32_e32 v13, 0
	s_addc_u32 s21, s11, s21
	global_store_dwordx2 v13, v[4:5], s[20:21]
	v_mov_b32_e32 v4, s19
	s_waitcnt vmcnt(0)
	buffer_wbinvl1_vol
	global_atomic_inc v4, v13, v4, s[12:13] glc
	s_waitcnt vmcnt(0)
	v_cmp_eq_u32_e32 vcc, s19, v4
	v_cndmask_b32_e64 v13, 0, 1, vcc
.LBB13_10:
	s_or_b64 exec, exec, s[16:17]
	global_load_dword v4, v1, s[14:15] offset:14
	s_waitcnt vmcnt(0)
	v_readfirstlane_b32 s7, v4
	s_lshr_b32 s16, s7, 16
	s_and_b32 s7, s7, 0xffff
	s_cmp_lt_u32 s6, s18
	s_cselect_b32 s6, 12, 18
	s_add_u32 s12, s14, s6
	s_addc_u32 s13, s15, 0
	global_load_ushort v1, v1, s[12:13]
	v_or_b32_dpp v4, v13, v13 row_shl:1 row_mask:0xf bank_mask:0xf bound_ctrl:1
	s_waitcnt vmcnt(0)
	v_readfirstlane_b32 s13, v1
	v_or_b32_dpp v4, v4, v4 row_shl:2 row_mask:0xf bank_mask:0xf bound_ctrl:1
	s_mul_i32 s13, s7, s13
	s_bfe_i32 s13, s13, 0x180000
	v_or_b32_dpp v4, v4, v4 row_shl:4 row_mask:0xf bank_mask:0xf bound_ctrl:1
	s_mul_i32 s13, s13, s16
	s_add_i32 s13, s13, 63
	v_or_b32_dpp v4, v4, v4 row_shl:8 row_mask:0xf bank_mask:0xf bound_ctrl:1
	s_bitcmp1_b32 exec_hi, 0
	s_nop 0
	v_mov_b32_dpp v5, v4 wave_shl:1 row_mask:0xf bank_mask:0xf bound_ctrl:1
	s_nop 1
	v_or_b32_dpp v4, v5, v4 row_mirror row_mask:0xf bank_mask:0xf bound_ctrl:1
	v_readlane_b32 s6, v4, 32
	v_readlane_b32 s12, v4, 0
	s_cselect_b32 s6, s6, 0
	s_or_b32 s12, s6, s12
	s_andn2_b32 s13, s13, 63
	s_cmp_eq_u32 s13, 64
	v_mov_b32_e32 v4, s12
	s_cbranch_scc1 .LBB13_17
; %bb.11:
	v_bfe_u32 v4, v0, 10, 10
	v_bfe_u32 v0, v0, 20, 10
	v_mad_u32_u24 v0, v0, s7, v4
	v_mad_u64_u32 v[0:1], s[6:7], v0, v1, v[2:3]
	v_lshrrev_b32_e32 v1, 6, v0
	v_or_b32_e32 v1, v1, v12
	v_cmp_eq_u32_e32 vcc, 0, v1
	s_and_saveexec_b64 s[6:7], vcc
	s_cbranch_execz .LBB13_13
; %bb.12:
	v_mov_b32_e32 v1, 0
	v_mov_b32_e32 v4, s12
	ds_write_b32 v1, v4
.LBB13_13:
	s_or_b64 exec, exec, s[6:7]
	v_cmp_eq_u32_e32 vcc, 0, v12
	v_cmp_lt_u32_e64 s[6:7], 63, v0
	s_and_b64 s[14:15], vcc, s[6:7]
	s_waitcnt lgkmcnt(0)
	s_barrier
	s_and_saveexec_b64 s[6:7], s[14:15]
	s_cbranch_execz .LBB13_16
; %bb.14:
	v_mbcnt_lo_u32_b32 v0, exec_lo, 0
	v_mbcnt_hi_u32_b32 v0, exec_hi, v0
	v_cmp_eq_u32_e32 vcc, 0, v0
	s_and_b64 exec, exec, vcc
	s_cbranch_execz .LBB13_16
; %bb.15:
	v_mov_b32_e32 v0, 0
	v_mov_b32_e32 v1, s12
	ds_or_b32 v0, v1
.LBB13_16:
	s_or_b64 exec, exec, s[6:7]
	v_mov_b32_e32 v0, 0
	s_waitcnt lgkmcnt(0)
	s_barrier
	ds_read_b32 v4, v0
	s_waitcnt lgkmcnt(0)
	s_barrier
.LBB13_17:
	v_cmp_eq_u32_e32 vcc, 0, v4
	s_cbranch_vccnz .LBB13_30
; %bb.18:
	v_cmp_gt_i32_e32 vcc, s18, v2
	v_pk_mov_b32 v[0:1], 0, 0
	buffer_wbinvl1_vol
	s_and_saveexec_b64 s[6:7], vcc
	s_cbranch_execz .LBB13_22
; %bb.19:
	v_lshlrev_b32_e32 v0, 3, v2
	v_mov_b32_e32 v1, s11
	v_add_co_u32_e32 v4, vcc, s10, v0
	v_addc_co_u32_e32 v5, vcc, 0, v1, vcc
	s_mov_b64 s[10:11], 0
	v_pk_mov_b32 v[0:1], 0, 0
	v_mov_b32_e32 v12, v2
.LBB13_20:                              ; =>This Inner Loop Header: Depth=1
	global_load_dwordx2 v[14:15], v[4:5], off
	v_add_co_u32_e32 v4, vcc, 0x800, v4
	v_add_u32_e32 v12, 0x100, v12
	v_addc_co_u32_e32 v5, vcc, 0, v5, vcc
	v_cmp_le_i32_e32 vcc, s18, v12
	s_or_b64 s[10:11], vcc, s[10:11]
	s_waitcnt vmcnt(0)
	v_add_f64 v[0:1], v[0:1], v[14:15]
	s_andn2_b64 exec, exec, s[10:11]
	s_cbranch_execnz .LBB13_20
; %bb.21:
	s_or_b64 exec, exec, s[10:11]
.LBB13_22:
	s_or_b64 exec, exec, s[6:7]
	ds_bpermute_b32 v5, v3, v1
	ds_bpermute_b32 v4, v3, v0
	s_waitcnt lgkmcnt(1)
	v_and_b32_e32 v12, 0xff00, v5
	v_and_b32_e32 v13, 0xff0000, v5
	v_and_b32_e32 v14, 0xff000000, v5
	v_or_b32_sdwa v5, v5, v12 dst_sel:DWORD dst_unused:UNUSED_PAD src0_sel:BYTE_0 src1_sel:DWORD
	s_waitcnt lgkmcnt(0)
	v_or3_b32 v4, v4, 0, 0
	v_or3_b32 v5, v5, v13, v14
	v_add_f64 v[0:1], v[0:1], v[4:5]
	ds_bpermute_b32 v5, v6, v1
	ds_bpermute_b32 v4, v6, v0
	s_waitcnt lgkmcnt(1)
	v_and_b32_e32 v12, 0xff00, v5
	v_and_b32_e32 v13, 0xff0000, v5
	v_and_b32_e32 v14, 0xff000000, v5
	v_or_b32_sdwa v5, v5, v12 dst_sel:DWORD dst_unused:UNUSED_PAD src0_sel:BYTE_0 src1_sel:DWORD
	s_waitcnt lgkmcnt(0)
	v_or3_b32 v4, v4, 0, 0
	v_or3_b32 v5, v5, v13, v14
	v_add_f64 v[0:1], v[0:1], v[4:5]
	;; [unrolled: 11-line block ×5, first 2 shown]
	ds_bpermute_b32 v4, v11, v1
	ds_bpermute_b32 v10, v11, v0
	s_waitcnt lgkmcnt(1)
	v_and_b32_e32 v5, 0xff00, v4
	v_and_b32_e32 v11, 0xff0000, v4
	;; [unrolled: 1-line block ×3, first 2 shown]
	v_or_b32_sdwa v4, v4, v5 dst_sel:DWORD dst_unused:UNUSED_PAD src0_sel:BYTE_0 src1_sel:DWORD
	v_or3_b32 v5, v4, v11, v12
	s_waitcnt lgkmcnt(0)
	v_or3_b32 v4, v10, 0, 0
	v_add_f64 v[0:1], v[0:1], v[4:5]
	s_and_saveexec_b64 s[6:7], s[0:1]
	s_cbranch_execz .LBB13_24
; %bb.23:
	v_lshrrev_b32_e32 v2, 3, v2
	ds_write_b64 v2, v[0:1] offset:256
.LBB13_24:
	s_or_b64 exec, exec, s[6:7]
	s_waitcnt lgkmcnt(0)
	s_barrier
	s_and_saveexec_b64 s[0:1], s[2:3]
	s_cbranch_execz .LBB13_28
; %bb.25:
	v_cmp_gt_u32_e32 vcc, 4, v9
	v_pk_mov_b32 v[0:1], 0, 0
	s_and_saveexec_b64 s[2:3], vcc
	s_cbranch_execz .LBB13_27
; %bb.26:
	v_lshlrev_b32_e32 v0, 3, v9
	ds_read_b64 v[0:1], v0 offset:256
.LBB13_27:
	s_or_b64 exec, exec, s[2:3]
	s_waitcnt lgkmcnt(0)
	ds_bpermute_b32 v4, v3, v1
	ds_bpermute_b32 v2, v3, v0
	s_waitcnt lgkmcnt(1)
	v_and_b32_e32 v3, 0xff00, v4
	v_and_b32_e32 v5, 0xff0000, v4
	v_and_b32_e32 v9, 0xff000000, v4
	v_or_b32_sdwa v3, v4, v3 dst_sel:DWORD dst_unused:UNUSED_PAD src0_sel:BYTE_0 src1_sel:DWORD
	s_waitcnt lgkmcnt(0)
	v_or3_b32 v2, v2, 0, 0
	v_or3_b32 v3, v3, v5, v9
	v_add_f64 v[0:1], v[0:1], v[2:3]
	ds_bpermute_b32 v3, v6, v1
	ds_bpermute_b32 v2, v6, v0
	s_waitcnt lgkmcnt(1)
	v_and_b32_e32 v4, 0xff00, v3
	v_and_b32_e32 v5, 0xff0000, v3
	v_and_b32_e32 v6, 0xff000000, v3
	v_or_b32_sdwa v3, v3, v4 dst_sel:DWORD dst_unused:UNUSED_PAD src0_sel:BYTE_0 src1_sel:DWORD
	s_waitcnt lgkmcnt(0)
	v_or3_b32 v2, v2, 0, 0
	v_or3_b32 v3, v3, v5, v6
	v_add_f64 v[0:1], v[0:1], v[2:3]
	;; [unrolled: 11-line block ×3, first 2 shown]
	ds_bpermute_b32 v2, v8, v1
	ds_bpermute_b32 v4, v8, v0
	s_waitcnt lgkmcnt(1)
	v_and_b32_e32 v3, 0xff00, v2
	v_and_b32_e32 v5, 0xff0000, v2
	;; [unrolled: 1-line block ×3, first 2 shown]
	v_or_b32_sdwa v2, v2, v3 dst_sel:DWORD dst_unused:UNUSED_PAD src0_sel:BYTE_0 src1_sel:DWORD
	v_or3_b32 v3, v2, v5, v6
	s_waitcnt lgkmcnt(0)
	v_or3_b32 v2, v4, 0, 0
	v_add_f64 v[0:1], v[0:1], v[2:3]
.LBB13_28:
	s_or_b64 exec, exec, s[0:1]
	s_barrier
	s_and_saveexec_b64 s[0:1], s[4:5]
	s_cbranch_execz .LBB13_30
; %bb.29:
	v_mov_b32_e32 v2, 0
	global_store_dwordx2 v2, v[0:1], s[8:9]
.LBB13_30:
	s_endpgm
	.section	.rodata,"a",@progbits
	.p2align	6, 0x0
	.amdhsa_kernel _ZN4RAJA6policy3hip4impl18forallp_hip_kernelINS1_8hip_execINS_17iteration_mapping6DirectENS_3hip11IndexGlobalILNS_9named_dimE0ELi256ELi0EEENS7_40AvoidDeviceMaxThreadOccupancyConcretizerINS7_34FractionOffsetOccupancyConcretizerINS_8FractionImLm1ELm1EEELln1EEEEELb1EEENS_9Iterators16numeric_iteratorIllPlEEZN8rajaperf9algorithm10REDUCE_SUM26runHipVariantRAJANewReduceILm256ENSM_11gpu_mapping20global_direct_helperEEEvNSM_9VariantIDEEUllRNS_4expt5ValOpIdNS_9operators4plusEEEE_lNST_15ForallParamPackIJNST_6detail7ReducerINSW_IdddEEdSX_EEEEES6_SA_TnNSt9enable_ifIXaasr3std10is_base_ofINS5_10DirectBaseET4_EE5valuegtsrT5_10block_sizeLi0EEmE4typeELm256EEEvT1_T0_T2_T3_
		.amdhsa_group_segment_fixed_size 384
		.amdhsa_private_segment_fixed_size 0
		.amdhsa_kernarg_size 320
		.amdhsa_user_sgpr_count 6
		.amdhsa_user_sgpr_private_segment_buffer 1
		.amdhsa_user_sgpr_dispatch_ptr 0
		.amdhsa_user_sgpr_queue_ptr 0
		.amdhsa_user_sgpr_kernarg_segment_ptr 1
		.amdhsa_user_sgpr_dispatch_id 0
		.amdhsa_user_sgpr_flat_scratch_init 0
		.amdhsa_user_sgpr_kernarg_preload_length 0
		.amdhsa_user_sgpr_kernarg_preload_offset 0
		.amdhsa_user_sgpr_private_segment_size 0
		.amdhsa_uses_dynamic_stack 0
		.amdhsa_system_sgpr_private_segment_wavefront_offset 0
		.amdhsa_system_sgpr_workgroup_id_x 1
		.amdhsa_system_sgpr_workgroup_id_y 0
		.amdhsa_system_sgpr_workgroup_id_z 0
		.amdhsa_system_sgpr_workgroup_info 0
		.amdhsa_system_vgpr_workitem_id 2
		.amdhsa_next_free_vgpr 18
		.amdhsa_next_free_sgpr 22
		.amdhsa_accum_offset 20
		.amdhsa_reserve_vcc 1
		.amdhsa_reserve_flat_scratch 0
		.amdhsa_float_round_mode_32 0
		.amdhsa_float_round_mode_16_64 0
		.amdhsa_float_denorm_mode_32 3
		.amdhsa_float_denorm_mode_16_64 3
		.amdhsa_dx10_clamp 1
		.amdhsa_ieee_mode 1
		.amdhsa_fp16_overflow 0
		.amdhsa_tg_split 0
		.amdhsa_exception_fp_ieee_invalid_op 0
		.amdhsa_exception_fp_denorm_src 0
		.amdhsa_exception_fp_ieee_div_zero 0
		.amdhsa_exception_fp_ieee_overflow 0
		.amdhsa_exception_fp_ieee_underflow 0
		.amdhsa_exception_fp_ieee_inexact 0
		.amdhsa_exception_int_div_zero 0
	.end_amdhsa_kernel
	.section	.text._ZN4RAJA6policy3hip4impl18forallp_hip_kernelINS1_8hip_execINS_17iteration_mapping6DirectENS_3hip11IndexGlobalILNS_9named_dimE0ELi256ELi0EEENS7_40AvoidDeviceMaxThreadOccupancyConcretizerINS7_34FractionOffsetOccupancyConcretizerINS_8FractionImLm1ELm1EEELln1EEEEELb1EEENS_9Iterators16numeric_iteratorIllPlEEZN8rajaperf9algorithm10REDUCE_SUM26runHipVariantRAJANewReduceILm256ENSM_11gpu_mapping20global_direct_helperEEEvNSM_9VariantIDEEUllRNS_4expt5ValOpIdNS_9operators4plusEEEE_lNST_15ForallParamPackIJNST_6detail7ReducerINSW_IdddEEdSX_EEEEES6_SA_TnNSt9enable_ifIXaasr3std10is_base_ofINS5_10DirectBaseET4_EE5valuegtsrT5_10block_sizeLi0EEmE4typeELm256EEEvT1_T0_T2_T3_,"axG",@progbits,_ZN4RAJA6policy3hip4impl18forallp_hip_kernelINS1_8hip_execINS_17iteration_mapping6DirectENS_3hip11IndexGlobalILNS_9named_dimE0ELi256ELi0EEENS7_40AvoidDeviceMaxThreadOccupancyConcretizerINS7_34FractionOffsetOccupancyConcretizerINS_8FractionImLm1ELm1EEELln1EEEEELb1EEENS_9Iterators16numeric_iteratorIllPlEEZN8rajaperf9algorithm10REDUCE_SUM26runHipVariantRAJANewReduceILm256ENSM_11gpu_mapping20global_direct_helperEEEvNSM_9VariantIDEEUllRNS_4expt5ValOpIdNS_9operators4plusEEEE_lNST_15ForallParamPackIJNST_6detail7ReducerINSW_IdddEEdSX_EEEEES6_SA_TnNSt9enable_ifIXaasr3std10is_base_ofINS5_10DirectBaseET4_EE5valuegtsrT5_10block_sizeLi0EEmE4typeELm256EEEvT1_T0_T2_T3_,comdat
.Lfunc_end13:
	.size	_ZN4RAJA6policy3hip4impl18forallp_hip_kernelINS1_8hip_execINS_17iteration_mapping6DirectENS_3hip11IndexGlobalILNS_9named_dimE0ELi256ELi0EEENS7_40AvoidDeviceMaxThreadOccupancyConcretizerINS7_34FractionOffsetOccupancyConcretizerINS_8FractionImLm1ELm1EEELln1EEEEELb1EEENS_9Iterators16numeric_iteratorIllPlEEZN8rajaperf9algorithm10REDUCE_SUM26runHipVariantRAJANewReduceILm256ENSM_11gpu_mapping20global_direct_helperEEEvNSM_9VariantIDEEUllRNS_4expt5ValOpIdNS_9operators4plusEEEE_lNST_15ForallParamPackIJNST_6detail7ReducerINSW_IdddEEdSX_EEEEES6_SA_TnNSt9enable_ifIXaasr3std10is_base_ofINS5_10DirectBaseET4_EE5valuegtsrT5_10block_sizeLi0EEmE4typeELm256EEEvT1_T0_T2_T3_, .Lfunc_end13-_ZN4RAJA6policy3hip4impl18forallp_hip_kernelINS1_8hip_execINS_17iteration_mapping6DirectENS_3hip11IndexGlobalILNS_9named_dimE0ELi256ELi0EEENS7_40AvoidDeviceMaxThreadOccupancyConcretizerINS7_34FractionOffsetOccupancyConcretizerINS_8FractionImLm1ELm1EEELln1EEEEELb1EEENS_9Iterators16numeric_iteratorIllPlEEZN8rajaperf9algorithm10REDUCE_SUM26runHipVariantRAJANewReduceILm256ENSM_11gpu_mapping20global_direct_helperEEEvNSM_9VariantIDEEUllRNS_4expt5ValOpIdNS_9operators4plusEEEE_lNST_15ForallParamPackIJNST_6detail7ReducerINSW_IdddEEdSX_EEEEES6_SA_TnNSt9enable_ifIXaasr3std10is_base_ofINS5_10DirectBaseET4_EE5valuegtsrT5_10block_sizeLi0EEmE4typeELm256EEEvT1_T0_T2_T3_
                                        ; -- End function
	.section	.AMDGPU.csdata,"",@progbits
; Kernel info:
; codeLenInByte = 2672
; NumSgprs: 26
; NumVgprs: 18
; NumAgprs: 0
; TotalNumVgprs: 18
; ScratchSize: 0
; MemoryBound: 0
; FloatMode: 240
; IeeeMode: 1
; LDSByteSize: 384 bytes/workgroup (compile time only)
; SGPRBlocks: 3
; VGPRBlocks: 2
; NumSGPRsForWavesPerEU: 26
; NumVGPRsForWavesPerEU: 18
; AccumOffset: 20
; Occupancy: 8
; WaveLimiterHint : 0
; COMPUTE_PGM_RSRC2:SCRATCH_EN: 0
; COMPUTE_PGM_RSRC2:USER_SGPR: 6
; COMPUTE_PGM_RSRC2:TRAP_HANDLER: 0
; COMPUTE_PGM_RSRC2:TGID_X_EN: 1
; COMPUTE_PGM_RSRC2:TGID_Y_EN: 0
; COMPUTE_PGM_RSRC2:TGID_Z_EN: 0
; COMPUTE_PGM_RSRC2:TIDIG_COMP_CNT: 2
; COMPUTE_PGM_RSRC3_GFX90A:ACCUM_OFFSET: 4
; COMPUTE_PGM_RSRC3_GFX90A:TG_SPLIT: 0
	.section	.text._ZN4RAJA6policy3hip4impl18forallp_hip_kernelINS1_8hip_execINS_17iteration_mapping11StridedLoopILm0EEENS_3hip11IndexGlobalILNS_9named_dimE0ELi256ELi0EEENS8_40AvoidDeviceMaxThreadOccupancyConcretizerINS8_34FractionOffsetOccupancyConcretizerINS_8FractionImLm1ELm1EEELln1EEEEELb1EEENS_9Iterators16numeric_iteratorIllPlEEZN8rajaperf9algorithm10REDUCE_SUM17runHipVariantRAJAILm256ENSN_13gpu_algorithm19block_atomic_helperENSN_11gpu_mapping40global_loop_occupancy_grid_stride_helperEEEvNSN_9VariantIDEEUllE_lNS_4expt15ForallParamPackIJEEES7_SB_TnNSt9enable_ifIXaaaasr3std10is_base_ofINS5_15StridedLoopBaseET4_EE5valuesr3std10is_base_ofINS5_15UnsizedLoopBaseES12_EE5valuegtsrT5_10block_sizeLi0EEmE4typeELm256EEEvT1_T0_T2_T3_,"axG",@progbits,_ZN4RAJA6policy3hip4impl18forallp_hip_kernelINS1_8hip_execINS_17iteration_mapping11StridedLoopILm0EEENS_3hip11IndexGlobalILNS_9named_dimE0ELi256ELi0EEENS8_40AvoidDeviceMaxThreadOccupancyConcretizerINS8_34FractionOffsetOccupancyConcretizerINS_8FractionImLm1ELm1EEELln1EEEEELb1EEENS_9Iterators16numeric_iteratorIllPlEEZN8rajaperf9algorithm10REDUCE_SUM17runHipVariantRAJAILm256ENSN_13gpu_algorithm19block_atomic_helperENSN_11gpu_mapping40global_loop_occupancy_grid_stride_helperEEEvNSN_9VariantIDEEUllE_lNS_4expt15ForallParamPackIJEEES7_SB_TnNSt9enable_ifIXaaaasr3std10is_base_ofINS5_15StridedLoopBaseET4_EE5valuesr3std10is_base_ofINS5_15UnsizedLoopBaseES12_EE5valuegtsrT5_10block_sizeLi0EEmE4typeELm256EEEvT1_T0_T2_T3_,comdat
	.protected	_ZN4RAJA6policy3hip4impl18forallp_hip_kernelINS1_8hip_execINS_17iteration_mapping11StridedLoopILm0EEENS_3hip11IndexGlobalILNS_9named_dimE0ELi256ELi0EEENS8_40AvoidDeviceMaxThreadOccupancyConcretizerINS8_34FractionOffsetOccupancyConcretizerINS_8FractionImLm1ELm1EEELln1EEEEELb1EEENS_9Iterators16numeric_iteratorIllPlEEZN8rajaperf9algorithm10REDUCE_SUM17runHipVariantRAJAILm256ENSN_13gpu_algorithm19block_atomic_helperENSN_11gpu_mapping40global_loop_occupancy_grid_stride_helperEEEvNSN_9VariantIDEEUllE_lNS_4expt15ForallParamPackIJEEES7_SB_TnNSt9enable_ifIXaaaasr3std10is_base_ofINS5_15StridedLoopBaseET4_EE5valuesr3std10is_base_ofINS5_15UnsizedLoopBaseES12_EE5valuegtsrT5_10block_sizeLi0EEmE4typeELm256EEEvT1_T0_T2_T3_ ; -- Begin function _ZN4RAJA6policy3hip4impl18forallp_hip_kernelINS1_8hip_execINS_17iteration_mapping11StridedLoopILm0EEENS_3hip11IndexGlobalILNS_9named_dimE0ELi256ELi0EEENS8_40AvoidDeviceMaxThreadOccupancyConcretizerINS8_34FractionOffsetOccupancyConcretizerINS_8FractionImLm1ELm1EEELln1EEEEELb1EEENS_9Iterators16numeric_iteratorIllPlEEZN8rajaperf9algorithm10REDUCE_SUM17runHipVariantRAJAILm256ENSN_13gpu_algorithm19block_atomic_helperENSN_11gpu_mapping40global_loop_occupancy_grid_stride_helperEEEvNSN_9VariantIDEEUllE_lNS_4expt15ForallParamPackIJEEES7_SB_TnNSt9enable_ifIXaaaasr3std10is_base_ofINS5_15StridedLoopBaseET4_EE5valuesr3std10is_base_ofINS5_15UnsizedLoopBaseES12_EE5valuegtsrT5_10block_sizeLi0EEmE4typeELm256EEEvT1_T0_T2_T3_
	.globl	_ZN4RAJA6policy3hip4impl18forallp_hip_kernelINS1_8hip_execINS_17iteration_mapping11StridedLoopILm0EEENS_3hip11IndexGlobalILNS_9named_dimE0ELi256ELi0EEENS8_40AvoidDeviceMaxThreadOccupancyConcretizerINS8_34FractionOffsetOccupancyConcretizerINS_8FractionImLm1ELm1EEELln1EEEEELb1EEENS_9Iterators16numeric_iteratorIllPlEEZN8rajaperf9algorithm10REDUCE_SUM17runHipVariantRAJAILm256ENSN_13gpu_algorithm19block_atomic_helperENSN_11gpu_mapping40global_loop_occupancy_grid_stride_helperEEEvNSN_9VariantIDEEUllE_lNS_4expt15ForallParamPackIJEEES7_SB_TnNSt9enable_ifIXaaaasr3std10is_base_ofINS5_15StridedLoopBaseET4_EE5valuesr3std10is_base_ofINS5_15UnsizedLoopBaseES12_EE5valuegtsrT5_10block_sizeLi0EEmE4typeELm256EEEvT1_T0_T2_T3_
	.p2align	8
	.type	_ZN4RAJA6policy3hip4impl18forallp_hip_kernelINS1_8hip_execINS_17iteration_mapping11StridedLoopILm0EEENS_3hip11IndexGlobalILNS_9named_dimE0ELi256ELi0EEENS8_40AvoidDeviceMaxThreadOccupancyConcretizerINS8_34FractionOffsetOccupancyConcretizerINS_8FractionImLm1ELm1EEELln1EEEEELb1EEENS_9Iterators16numeric_iteratorIllPlEEZN8rajaperf9algorithm10REDUCE_SUM17runHipVariantRAJAILm256ENSN_13gpu_algorithm19block_atomic_helperENSN_11gpu_mapping40global_loop_occupancy_grid_stride_helperEEEvNSN_9VariantIDEEUllE_lNS_4expt15ForallParamPackIJEEES7_SB_TnNSt9enable_ifIXaaaasr3std10is_base_ofINS5_15StridedLoopBaseET4_EE5valuesr3std10is_base_ofINS5_15UnsizedLoopBaseES12_EE5valuegtsrT5_10block_sizeLi0EEmE4typeELm256EEEvT1_T0_T2_T3_,@function
_ZN4RAJA6policy3hip4impl18forallp_hip_kernelINS1_8hip_execINS_17iteration_mapping11StridedLoopILm0EEENS_3hip11IndexGlobalILNS_9named_dimE0ELi256ELi0EEENS8_40AvoidDeviceMaxThreadOccupancyConcretizerINS8_34FractionOffsetOccupancyConcretizerINS_8FractionImLm1ELm1EEELln1EEEEELb1EEENS_9Iterators16numeric_iteratorIllPlEEZN8rajaperf9algorithm10REDUCE_SUM17runHipVariantRAJAILm256ENSN_13gpu_algorithm19block_atomic_helperENSN_11gpu_mapping40global_loop_occupancy_grid_stride_helperEEEvNSN_9VariantIDEEUllE_lNS_4expt15ForallParamPackIJEEES7_SB_TnNSt9enable_ifIXaaaasr3std10is_base_ofINS5_15StridedLoopBaseET4_EE5valuesr3std10is_base_ofINS5_15UnsizedLoopBaseES12_EE5valuegtsrT5_10block_sizeLi0EEmE4typeELm256EEEvT1_T0_T2_T3_: ; @_ZN4RAJA6policy3hip4impl18forallp_hip_kernelINS1_8hip_execINS_17iteration_mapping11StridedLoopILm0EEENS_3hip11IndexGlobalILNS_9named_dimE0ELi256ELi0EEENS8_40AvoidDeviceMaxThreadOccupancyConcretizerINS8_34FractionOffsetOccupancyConcretizerINS_8FractionImLm1ELm1EEELln1EEEEELb1EEENS_9Iterators16numeric_iteratorIllPlEEZN8rajaperf9algorithm10REDUCE_SUM17runHipVariantRAJAILm256ENSN_13gpu_algorithm19block_atomic_helperENSN_11gpu_mapping40global_loop_occupancy_grid_stride_helperEEEvNSN_9VariantIDEEUllE_lNS_4expt15ForallParamPackIJEEES7_SB_TnNSt9enable_ifIXaaaasr3std10is_base_ofINS5_15StridedLoopBaseET4_EE5valuesr3std10is_base_ofINS5_15UnsizedLoopBaseES12_EE5valuegtsrT5_10block_sizeLi0EEmE4typeELm256EEEvT1_T0_T2_T3_
; %bb.0:
	s_load_dwordx2 s[2:3], s[4:5], 0x18
	s_load_dwordx2 s[10:11], s[4:5], 0x38
	s_mov_b32 s0, s7
	s_mov_b32 s7, 0
	v_and_b32_e32 v1, 0x3ff, v0
	s_lshl_b64 s[12:13], s[6:7], 8
	v_or_b32_e32 v4, s12, v1
	v_mov_b32_e32 v5, s13
	s_waitcnt lgkmcnt(0)
	v_cmp_gt_i64_e32 vcc, s[10:11], v[4:5]
	v_pk_mov_b32 v[2:3], s[2:3], s[2:3] op_sel:[0,1]
	s_and_saveexec_b64 s[12:13], vcc
	s_cbranch_execz .LBB14_4
; %bb.1:
	s_load_dword s20, s[4:5], 0x48
	s_load_dwordx4 s[16:19], s[4:5], 0x28
	s_mov_b32 s21, s7
	s_lshl_b64 s[22:23], s[6:7], 11
	v_lshlrev_b32_e32 v2, 3, v1
	s_waitcnt lgkmcnt(0)
	s_lshl_b64 s[14:15], s[20:21], 8
	s_lshl_b64 s[18:19], s[18:19], 3
	s_add_u32 s1, s22, s18
	s_addc_u32 s7, s23, s19
	s_add_u32 s1, s16, s1
	s_addc_u32 s7, s17, s7
	v_mov_b32_e32 v3, s7
	v_add_co_u32_e32 v6, vcc, s1, v2
	s_lshl_b64 s[18:19], s[20:21], 11
	v_addc_co_u32_e32 v7, vcc, 0, v3, vcc
	s_mov_b64 s[16:17], 0
	v_pk_mov_b32 v[2:3], s[2:3], s[2:3] op_sel:[0,1]
	v_mov_b32_e32 v8, s19
	v_mov_b32_e32 v9, s15
.LBB14_2:                               ; =>This Inner Loop Header: Depth=1
	global_load_dwordx2 v[10:11], v[6:7], off
	v_add_co_u32_e32 v6, vcc, s18, v6
	v_addc_co_u32_e32 v7, vcc, v7, v8, vcc
	v_add_co_u32_e32 v4, vcc, s14, v4
	v_addc_co_u32_e32 v5, vcc, v5, v9, vcc
	v_cmp_le_i64_e32 vcc, s[10:11], v[4:5]
	s_or_b64 s[16:17], vcc, s[16:17]
	s_waitcnt vmcnt(0)
	v_add_f64 v[2:3], v[2:3], v[10:11]
	s_andn2_b64 exec, exec, s[16:17]
	s_cbranch_execnz .LBB14_2
; %bb.3:
	s_or_b64 exec, exec, s[16:17]
.LBB14_4:
	s_or_b64 exec, exec, s[12:13]
	s_load_dwordx4 s[12:15], s[4:5], 0x0
	s_waitcnt lgkmcnt(0)
	s_cmp_lg_u64 s[12:13], 0
	s_cbranch_scc1 .LBB14_19
; %bb.5:
	s_load_dwordx2 s[10:11], s[4:5], 0x48
	s_add_u32 s1, s4, 0x48
	v_mov_b32_e32 v4, 0
	global_load_dword v5, v4, s[4:5] offset:86
	s_addc_u32 s7, s5, 0
	s_waitcnt lgkmcnt(0)
	s_cmp_lt_u32 s6, s10
	s_cselect_b32 s4, 12, 18
	s_add_u32 s4, s1, s4
	s_addc_u32 s5, s7, 0
	global_load_ushort v4, v4, s[4:5]
	v_bfe_u32 v6, v0, 10, 10
	v_bfe_u32 v0, v0, 20, 10
	s_mov_b32 s13, 0
	s_waitcnt vmcnt(1)
	v_readfirstlane_b32 s1, v5
	s_lshr_b32 s4, s1, 16
	s_and_b32 s1, s1, 0xffff
	s_waitcnt vmcnt(0)
	v_readfirstlane_b32 s5, v4
	s_mul_i32 s1, s1, s5
	v_mad_u32_u24 v6, v6, v4, v1
	v_mul_lo_u32 v7, s1, v0
	s_mul_i32 s4, s1, s4
	v_add_u32_e32 v1, v7, v6
	s_ashr_i32 s5, s4, 31
	s_and_b32 s12, s4, 63
	v_mbcnt_lo_u32_b32 v0, -1, 0
	v_ashrrev_i32_e32 v9, 31, v1
	s_cmp_eq_u64 s[12:13], 0
	v_mbcnt_hi_u32_b32 v8, -1, v0
	s_cbranch_scc1 .LBB14_20
; %bb.6:
	v_and_b32_e32 v0, 64, v8
	v_xor_b32_e32 v10, 1, v1
	v_and_or_b32 v4, v10, 63, v0
	v_lshlrev_b32_e32 v4, 2, v4
	ds_bpermute_b32 v5, v4, v3
	ds_bpermute_b32 v4, v4, v2
	v_cmp_gt_i32_e32 vcc, s4, v10
	s_waitcnt lgkmcnt(1)
	v_and_b32_e32 v11, 0xff00, v5
	v_and_b32_e32 v12, 0xff0000, v5
	;; [unrolled: 1-line block ×3, first 2 shown]
	v_or_b32_sdwa v5, v5, v11 dst_sel:DWORD dst_unused:UNUSED_PAD src0_sel:BYTE_0 src1_sel:DWORD
	v_or3_b32 v5, v5, v12, v13
	s_waitcnt lgkmcnt(0)
	v_or3_b32 v4, v4, 0, 0
	v_xor_b32_e32 v12, 2, v1
	v_add_f64 v[4:5], v[2:3], v[4:5]
	v_and_or_b32 v10, v12, 63, v0
	v_cndmask_b32_e32 v5, v3, v5, vcc
	v_lshlrev_b32_e32 v10, 2, v10
	ds_bpermute_b32 v11, v10, v5
	v_cndmask_b32_e32 v4, v2, v4, vcc
	ds_bpermute_b32 v10, v10, v4
	v_cmp_gt_i32_e32 vcc, s4, v12
	v_xor_b32_e32 v12, 4, v1
	s_waitcnt lgkmcnt(1)
	v_and_b32_e32 v13, 0xff00, v11
	v_and_b32_e32 v14, 0xff0000, v11
	v_or_b32_sdwa v13, v11, v13 dst_sel:DWORD dst_unused:UNUSED_PAD src0_sel:BYTE_0 src1_sel:DWORD
	v_and_b32_e32 v11, 0xff000000, v11
	v_or3_b32 v11, v13, v14, v11
	s_waitcnt lgkmcnt(0)
	v_or3_b32 v10, v10, 0, 0
	v_add_f64 v[10:11], v[4:5], v[10:11]
	v_cndmask_b32_e32 v5, v5, v11, vcc
	v_and_or_b32 v11, v12, 63, v0
	v_lshlrev_b32_e32 v11, 2, v11
	ds_bpermute_b32 v13, v11, v5
	v_cndmask_b32_e32 v4, v4, v10, vcc
	ds_bpermute_b32 v10, v11, v4
	v_cmp_gt_i32_e32 vcc, s4, v12
	v_xor_b32_e32 v12, 8, v1
	s_waitcnt lgkmcnt(1)
	v_and_b32_e32 v11, 0xff00, v13
	v_and_b32_e32 v14, 0xff0000, v13
	v_or_b32_sdwa v11, v13, v11 dst_sel:DWORD dst_unused:UNUSED_PAD src0_sel:BYTE_0 src1_sel:DWORD
	v_and_b32_e32 v13, 0xff000000, v13
	v_or3_b32 v11, v11, v14, v13
	s_waitcnt lgkmcnt(0)
	v_or3_b32 v10, v10, 0, 0
	v_add_f64 v[10:11], v[4:5], v[10:11]
	v_cndmask_b32_e32 v5, v5, v11, vcc
	v_and_or_b32 v11, v12, 63, v0
	;; [unrolled: 17-line block ×3, first 2 shown]
	v_lshlrev_b32_e32 v11, 2, v11
	ds_bpermute_b32 v13, v11, v5
	v_cndmask_b32_e32 v4, v4, v10, vcc
	ds_bpermute_b32 v10, v11, v4
	v_cmp_gt_i32_e32 vcc, s4, v12
	v_xor_b32_e32 v12, 32, v1
	s_waitcnt lgkmcnt(1)
	v_and_b32_e32 v11, 0xff00, v13
	v_and_b32_e32 v14, 0xff0000, v13
	v_or_b32_sdwa v11, v13, v11 dst_sel:DWORD dst_unused:UNUSED_PAD src0_sel:BYTE_0 src1_sel:DWORD
	v_and_b32_e32 v13, 0xff000000, v13
	v_or3_b32 v11, v11, v14, v13
	s_waitcnt lgkmcnt(0)
	v_or3_b32 v10, v10, 0, 0
	v_add_f64 v[10:11], v[4:5], v[10:11]
	v_and_or_b32 v0, v12, 63, v0
	v_cndmask_b32_e32 v5, v5, v11, vcc
	v_lshlrev_b32_e32 v0, 2, v0
	ds_bpermute_b32 v11, v0, v5
	v_cndmask_b32_e32 v4, v4, v10, vcc
	ds_bpermute_b32 v0, v0, v4
	v_cmp_gt_i32_e32 vcc, s4, v12
	s_waitcnt lgkmcnt(1)
	v_and_b32_e32 v10, 0xff00, v11
	v_and_b32_e32 v13, 0xff0000, v11
	v_or_b32_sdwa v10, v11, v10 dst_sel:DWORD dst_unused:UNUSED_PAD src0_sel:BYTE_0 src1_sel:DWORD
	v_and_b32_e32 v11, 0xff000000, v11
	v_or3_b32 v11, v10, v13, v11
	s_waitcnt lgkmcnt(0)
	v_or3_b32 v10, v0, 0, 0
	v_add_f64 v[10:11], v[4:5], v[10:11]
	v_cndmask_b32_e32 v5, v5, v11, vcc
	v_cndmask_b32_e32 v4, v4, v10, vcc
	s_cbranch_execnz .LBB14_8
.LBB14_7:
	v_and_b32_e32 v0, 64, v8
	v_add_u32_e32 v0, 64, v0
	v_xor_b32_e32 v4, 1, v8
	v_cmp_lt_i32_e32 vcc, v4, v0
	v_cndmask_b32_e32 v4, v8, v4, vcc
	v_lshlrev_b32_e32 v4, 2, v4
	ds_bpermute_b32 v5, v4, v3
	ds_bpermute_b32 v4, v4, v2
	s_waitcnt lgkmcnt(1)
	v_and_b32_e32 v10, 0xff00, v5
	v_and_b32_e32 v11, 0xff0000, v5
	v_or_b32_sdwa v10, v5, v10 dst_sel:DWORD dst_unused:UNUSED_PAD src0_sel:BYTE_0 src1_sel:DWORD
	v_and_b32_e32 v5, 0xff000000, v5
	v_or3_b32 v5, v10, v11, v5
	s_waitcnt lgkmcnt(0)
	v_or3_b32 v4, v4, 0, 0
	v_add_f64 v[2:3], v[2:3], v[4:5]
	v_xor_b32_e32 v4, 2, v8
	v_cmp_lt_i32_e32 vcc, v4, v0
	v_cndmask_b32_e32 v4, v8, v4, vcc
	v_lshlrev_b32_e32 v4, 2, v4
	ds_bpermute_b32 v5, v4, v3
	ds_bpermute_b32 v4, v4, v2
	s_waitcnt lgkmcnt(1)
	v_and_b32_e32 v10, 0xff00, v5
	v_and_b32_e32 v11, 0xff0000, v5
	v_or_b32_sdwa v10, v5, v10 dst_sel:DWORD dst_unused:UNUSED_PAD src0_sel:BYTE_0 src1_sel:DWORD
	v_and_b32_e32 v5, 0xff000000, v5
	v_or3_b32 v5, v10, v11, v5
	s_waitcnt lgkmcnt(0)
	v_or3_b32 v4, v4, 0, 0
	v_add_f64 v[2:3], v[2:3], v[4:5]
	;; [unrolled: 15-line block ×6, first 2 shown]
.LBB14_8:
	s_cmpk_lt_i32 s4, 0x41
	s_cbranch_scc1 .LBB14_16
; %bb.9:
	v_lshrrev_b32_e32 v0, 26, v9
	v_add_u32_e32 v2, v1, v0
	v_and_b32_e32 v0, 0xffffffc0, v2
	v_sub_u32_e32 v0, v1, v0
	v_cmp_eq_u32_e32 vcc, 0, v0
	s_and_saveexec_b64 s[12:13], vcc
	s_cbranch_execz .LBB14_11
; %bb.10:
	v_ashrrev_i32_e32 v2, 6, v2
	v_lshlrev_b32_e32 v2, 3, v2
	ds_write_b64 v2, v[4:5]
.LBB14_11:
	s_or_b64 exec, exec, s[12:13]
	v_add_co_u32_e32 v2, vcc, 63, v1
	v_addc_co_u32_e32 v3, vcc, 0, v9, vcc
	s_mov_b64 s[12:13], 0x7f
	v_cmp_gt_u64_e32 vcc, s[12:13], v[2:3]
	s_waitcnt lgkmcnt(0)
	s_barrier
	s_and_saveexec_b64 s[12:13], vcc
	s_cbranch_execz .LBB14_15
; %bb.12:
	v_ashrrev_i32_e32 v1, 31, v0
	v_lshlrev_b64 v[2:3], 6, v[0:1]
	v_cmp_gt_i64_e32 vcc, s[4:5], v[2:3]
	v_pk_mov_b32 v[2:3], s[2:3], s[2:3] op_sel:[0,1]
	s_and_saveexec_b64 s[4:5], vcc
	s_cbranch_execz .LBB14_14
; %bb.13:
	v_lshlrev_b32_e32 v0, 3, v0
	ds_read_b64 v[2:3], v0
.LBB14_14:
	s_or_b64 exec, exec, s[4:5]
	v_and_b32_e32 v0, 64, v8
	v_add_u32_e32 v4, 64, v0
	v_xor_b32_e32 v0, 1, v8
	v_cmp_lt_i32_e32 vcc, v0, v4
	v_cndmask_b32_e32 v0, v8, v0, vcc
	v_lshlrev_b32_e32 v0, 2, v0
	s_waitcnt lgkmcnt(0)
	ds_bpermute_b32 v1, v0, v3
	ds_bpermute_b32 v0, v0, v2
	s_waitcnt lgkmcnt(1)
	v_and_b32_e32 v5, 0xff00, v1
	v_and_b32_e32 v9, 0xff0000, v1
	v_or_b32_sdwa v5, v1, v5 dst_sel:DWORD dst_unused:UNUSED_PAD src0_sel:BYTE_0 src1_sel:DWORD
	v_and_b32_e32 v1, 0xff000000, v1
	v_or3_b32 v1, v5, v9, v1
	s_waitcnt lgkmcnt(0)
	v_or3_b32 v0, v0, 0, 0
	v_add_f64 v[0:1], v[2:3], v[0:1]
	v_xor_b32_e32 v2, 2, v8
	v_cmp_lt_i32_e32 vcc, v2, v4
	v_cndmask_b32_e32 v2, v8, v2, vcc
	v_lshlrev_b32_e32 v2, 2, v2
	ds_bpermute_b32 v3, v2, v1
	ds_bpermute_b32 v2, v2, v0
	s_waitcnt lgkmcnt(1)
	v_and_b32_e32 v5, 0xff00, v3
	v_and_b32_e32 v9, 0xff0000, v3
	v_or_b32_sdwa v5, v3, v5 dst_sel:DWORD dst_unused:UNUSED_PAD src0_sel:BYTE_0 src1_sel:DWORD
	v_and_b32_e32 v3, 0xff000000, v3
	v_or3_b32 v3, v5, v9, v3
	s_waitcnt lgkmcnt(0)
	v_or3_b32 v2, v2, 0, 0
	v_add_f64 v[0:1], v[0:1], v[2:3]
	v_xor_b32_e32 v2, 4, v8
	v_cmp_lt_i32_e32 vcc, v2, v4
	v_cndmask_b32_e32 v2, v8, v2, vcc
	v_lshlrev_b32_e32 v2, 2, v2
	;; [unrolled: 15-line block ×3, first 2 shown]
	ds_bpermute_b32 v3, v2, v1
	ds_bpermute_b32 v2, v2, v0
	s_waitcnt lgkmcnt(1)
	v_and_b32_e32 v4, 0xff00, v3
	v_and_b32_e32 v5, 0xff0000, v3
	v_or_b32_sdwa v4, v3, v4 dst_sel:DWORD dst_unused:UNUSED_PAD src0_sel:BYTE_0 src1_sel:DWORD
	v_and_b32_e32 v3, 0xff000000, v3
	v_or3_b32 v3, v4, v5, v3
	s_waitcnt lgkmcnt(0)
	v_or3_b32 v2, v2, 0, 0
	v_add_f64 v[4:5], v[0:1], v[2:3]
.LBB14_15:
	s_or_b64 exec, exec, s[12:13]
	s_barrier
.LBB14_16:
	v_sub_u32_e32 v0, 0, v7
	v_cmp_eq_u32_e32 vcc, v6, v0
	v_cmp_neq_f64_e64 s[2:3], s[2:3], v[4:5]
	s_and_b64 s[2:3], vcc, s[2:3]
	s_and_saveexec_b64 s[4:5], s[2:3]
	s_cbranch_execz .LBB14_19
; %bb.17:
	s_mul_i32 s1, s11, s8
	s_add_i32 s0, s1, s0
	s_mul_i32 s0, s0, s10
	s_add_i32 s0, s0, s6
	s_ashr_i32 s1, s0, 31
	s_lshr_b32 s1, s1, 27
	s_add_i32 s1, s0, s1
	s_and_b32 s1, s1, 0x1fffffe0
	s_sub_i32 s0, s0, s1
	s_lshl_b32 s0, s0, 3
	s_ashr_i32 s1, s0, 31
	s_lshl_b64 s[0:1], s[0:1], 3
	s_add_u32 s0, s14, s0
	s_addc_u32 s1, s15, s1
	v_pk_mov_b32 v[6:7], s[0:1], s[0:1] op_sel:[0,1]
	flat_load_dwordx2 v[2:3], v[6:7]
	s_mov_b64 s[0:1], 0
.LBB14_18:                              ; =>This Inner Loop Header: Depth=1
	s_waitcnt vmcnt(0) lgkmcnt(0)
	v_add_f64 v[0:1], v[2:3], v[4:5]
	flat_atomic_cmpswap_x2 v[0:1], v[6:7], v[0:3] glc
	s_waitcnt vmcnt(0) lgkmcnt(0)
	v_cmp_eq_u64_e32 vcc, v[0:1], v[2:3]
	s_or_b64 s[0:1], vcc, s[0:1]
	v_pk_mov_b32 v[2:3], v[0:1], v[0:1] op_sel:[0,1]
	s_andn2_b64 exec, exec, s[0:1]
	s_cbranch_execnz .LBB14_18
.LBB14_19:
	s_endpgm
.LBB14_20:
                                        ; implicit-def: $vgpr4_vgpr5
	s_branch .LBB14_7
	.section	.rodata,"a",@progbits
	.p2align	6, 0x0
	.amdhsa_kernel _ZN4RAJA6policy3hip4impl18forallp_hip_kernelINS1_8hip_execINS_17iteration_mapping11StridedLoopILm0EEENS_3hip11IndexGlobalILNS_9named_dimE0ELi256ELi0EEENS8_40AvoidDeviceMaxThreadOccupancyConcretizerINS8_34FractionOffsetOccupancyConcretizerINS_8FractionImLm1ELm1EEELln1EEEEELb1EEENS_9Iterators16numeric_iteratorIllPlEEZN8rajaperf9algorithm10REDUCE_SUM17runHipVariantRAJAILm256ENSN_13gpu_algorithm19block_atomic_helperENSN_11gpu_mapping40global_loop_occupancy_grid_stride_helperEEEvNSN_9VariantIDEEUllE_lNS_4expt15ForallParamPackIJEEES7_SB_TnNSt9enable_ifIXaaaasr3std10is_base_ofINS5_15StridedLoopBaseET4_EE5valuesr3std10is_base_ofINS5_15UnsizedLoopBaseES12_EE5valuegtsrT5_10block_sizeLi0EEmE4typeELm256EEEvT1_T0_T2_T3_
		.amdhsa_group_segment_fixed_size 128
		.amdhsa_private_segment_fixed_size 0
		.amdhsa_kernarg_size 328
		.amdhsa_user_sgpr_count 6
		.amdhsa_user_sgpr_private_segment_buffer 1
		.amdhsa_user_sgpr_dispatch_ptr 0
		.amdhsa_user_sgpr_queue_ptr 0
		.amdhsa_user_sgpr_kernarg_segment_ptr 1
		.amdhsa_user_sgpr_dispatch_id 0
		.amdhsa_user_sgpr_flat_scratch_init 0
		.amdhsa_user_sgpr_kernarg_preload_length 0
		.amdhsa_user_sgpr_kernarg_preload_offset 0
		.amdhsa_user_sgpr_private_segment_size 0
		.amdhsa_uses_dynamic_stack 0
		.amdhsa_system_sgpr_private_segment_wavefront_offset 0
		.amdhsa_system_sgpr_workgroup_id_x 1
		.amdhsa_system_sgpr_workgroup_id_y 1
		.amdhsa_system_sgpr_workgroup_id_z 1
		.amdhsa_system_sgpr_workgroup_info 0
		.amdhsa_system_vgpr_workitem_id 2
		.amdhsa_next_free_vgpr 15
		.amdhsa_next_free_sgpr 24
		.amdhsa_accum_offset 16
		.amdhsa_reserve_vcc 1
		.amdhsa_reserve_flat_scratch 0
		.amdhsa_float_round_mode_32 0
		.amdhsa_float_round_mode_16_64 0
		.amdhsa_float_denorm_mode_32 3
		.amdhsa_float_denorm_mode_16_64 3
		.amdhsa_dx10_clamp 1
		.amdhsa_ieee_mode 1
		.amdhsa_fp16_overflow 0
		.amdhsa_tg_split 0
		.amdhsa_exception_fp_ieee_invalid_op 0
		.amdhsa_exception_fp_denorm_src 0
		.amdhsa_exception_fp_ieee_div_zero 0
		.amdhsa_exception_fp_ieee_overflow 0
		.amdhsa_exception_fp_ieee_underflow 0
		.amdhsa_exception_fp_ieee_inexact 0
		.amdhsa_exception_int_div_zero 0
	.end_amdhsa_kernel
	.section	.text._ZN4RAJA6policy3hip4impl18forallp_hip_kernelINS1_8hip_execINS_17iteration_mapping11StridedLoopILm0EEENS_3hip11IndexGlobalILNS_9named_dimE0ELi256ELi0EEENS8_40AvoidDeviceMaxThreadOccupancyConcretizerINS8_34FractionOffsetOccupancyConcretizerINS_8FractionImLm1ELm1EEELln1EEEEELb1EEENS_9Iterators16numeric_iteratorIllPlEEZN8rajaperf9algorithm10REDUCE_SUM17runHipVariantRAJAILm256ENSN_13gpu_algorithm19block_atomic_helperENSN_11gpu_mapping40global_loop_occupancy_grid_stride_helperEEEvNSN_9VariantIDEEUllE_lNS_4expt15ForallParamPackIJEEES7_SB_TnNSt9enable_ifIXaaaasr3std10is_base_ofINS5_15StridedLoopBaseET4_EE5valuesr3std10is_base_ofINS5_15UnsizedLoopBaseES12_EE5valuegtsrT5_10block_sizeLi0EEmE4typeELm256EEEvT1_T0_T2_T3_,"axG",@progbits,_ZN4RAJA6policy3hip4impl18forallp_hip_kernelINS1_8hip_execINS_17iteration_mapping11StridedLoopILm0EEENS_3hip11IndexGlobalILNS_9named_dimE0ELi256ELi0EEENS8_40AvoidDeviceMaxThreadOccupancyConcretizerINS8_34FractionOffsetOccupancyConcretizerINS_8FractionImLm1ELm1EEELln1EEEEELb1EEENS_9Iterators16numeric_iteratorIllPlEEZN8rajaperf9algorithm10REDUCE_SUM17runHipVariantRAJAILm256ENSN_13gpu_algorithm19block_atomic_helperENSN_11gpu_mapping40global_loop_occupancy_grid_stride_helperEEEvNSN_9VariantIDEEUllE_lNS_4expt15ForallParamPackIJEEES7_SB_TnNSt9enable_ifIXaaaasr3std10is_base_ofINS5_15StridedLoopBaseET4_EE5valuesr3std10is_base_ofINS5_15UnsizedLoopBaseES12_EE5valuegtsrT5_10block_sizeLi0EEmE4typeELm256EEEvT1_T0_T2_T3_,comdat
.Lfunc_end14:
	.size	_ZN4RAJA6policy3hip4impl18forallp_hip_kernelINS1_8hip_execINS_17iteration_mapping11StridedLoopILm0EEENS_3hip11IndexGlobalILNS_9named_dimE0ELi256ELi0EEENS8_40AvoidDeviceMaxThreadOccupancyConcretizerINS8_34FractionOffsetOccupancyConcretizerINS_8FractionImLm1ELm1EEELln1EEEEELb1EEENS_9Iterators16numeric_iteratorIllPlEEZN8rajaperf9algorithm10REDUCE_SUM17runHipVariantRAJAILm256ENSN_13gpu_algorithm19block_atomic_helperENSN_11gpu_mapping40global_loop_occupancy_grid_stride_helperEEEvNSN_9VariantIDEEUllE_lNS_4expt15ForallParamPackIJEEES7_SB_TnNSt9enable_ifIXaaaasr3std10is_base_ofINS5_15StridedLoopBaseET4_EE5valuesr3std10is_base_ofINS5_15UnsizedLoopBaseES12_EE5valuegtsrT5_10block_sizeLi0EEmE4typeELm256EEEvT1_T0_T2_T3_, .Lfunc_end14-_ZN4RAJA6policy3hip4impl18forallp_hip_kernelINS1_8hip_execINS_17iteration_mapping11StridedLoopILm0EEENS_3hip11IndexGlobalILNS_9named_dimE0ELi256ELi0EEENS8_40AvoidDeviceMaxThreadOccupancyConcretizerINS8_34FractionOffsetOccupancyConcretizerINS_8FractionImLm1ELm1EEELln1EEEEELb1EEENS_9Iterators16numeric_iteratorIllPlEEZN8rajaperf9algorithm10REDUCE_SUM17runHipVariantRAJAILm256ENSN_13gpu_algorithm19block_atomic_helperENSN_11gpu_mapping40global_loop_occupancy_grid_stride_helperEEEvNSN_9VariantIDEEUllE_lNS_4expt15ForallParamPackIJEEES7_SB_TnNSt9enable_ifIXaaaasr3std10is_base_ofINS5_15StridedLoopBaseET4_EE5valuesr3std10is_base_ofINS5_15UnsizedLoopBaseES12_EE5valuegtsrT5_10block_sizeLi0EEmE4typeELm256EEEvT1_T0_T2_T3_
                                        ; -- End function
	.section	.AMDGPU.csdata,"",@progbits
; Kernel info:
; codeLenInByte = 2364
; NumSgprs: 28
; NumVgprs: 15
; NumAgprs: 0
; TotalNumVgprs: 15
; ScratchSize: 0
; MemoryBound: 0
; FloatMode: 240
; IeeeMode: 1
; LDSByteSize: 128 bytes/workgroup (compile time only)
; SGPRBlocks: 3
; VGPRBlocks: 1
; NumSGPRsForWavesPerEU: 28
; NumVGPRsForWavesPerEU: 15
; AccumOffset: 16
; Occupancy: 8
; WaveLimiterHint : 0
; COMPUTE_PGM_RSRC2:SCRATCH_EN: 0
; COMPUTE_PGM_RSRC2:USER_SGPR: 6
; COMPUTE_PGM_RSRC2:TRAP_HANDLER: 0
; COMPUTE_PGM_RSRC2:TGID_X_EN: 1
; COMPUTE_PGM_RSRC2:TGID_Y_EN: 1
; COMPUTE_PGM_RSRC2:TGID_Z_EN: 1
; COMPUTE_PGM_RSRC2:TIDIG_COMP_CNT: 2
; COMPUTE_PGM_RSRC3_GFX90A:ACCUM_OFFSET: 3
; COMPUTE_PGM_RSRC3_GFX90A:TG_SPLIT: 0
	.section	.text._ZN4RAJA6policy3hip4impl18forallp_hip_kernelINS1_8hip_execINS_17iteration_mapping11StridedLoopILm0EEENS_3hip11IndexGlobalILNS_9named_dimE0ELi256ELi0EEENS8_40AvoidDeviceMaxThreadOccupancyConcretizerINS8_34FractionOffsetOccupancyConcretizerINS_8FractionImLm1ELm1EEELln1EEEEELb1EEENS_9Iterators16numeric_iteratorIllPlEEZN8rajaperf9algorithm10REDUCE_SUM17runHipVariantRAJAILm256ENSN_13gpu_algorithm19block_device_helperENSN_11gpu_mapping40global_loop_occupancy_grid_stride_helperEEEvNSN_9VariantIDEEUllE_lNS_4expt15ForallParamPackIJEEES7_SB_TnNSt9enable_ifIXaaaasr3std10is_base_ofINS5_15StridedLoopBaseET4_EE5valuesr3std10is_base_ofINS5_15UnsizedLoopBaseES12_EE5valuegtsrT5_10block_sizeLi0EEmE4typeELm256EEEvT1_T0_T2_T3_,"axG",@progbits,_ZN4RAJA6policy3hip4impl18forallp_hip_kernelINS1_8hip_execINS_17iteration_mapping11StridedLoopILm0EEENS_3hip11IndexGlobalILNS_9named_dimE0ELi256ELi0EEENS8_40AvoidDeviceMaxThreadOccupancyConcretizerINS8_34FractionOffsetOccupancyConcretizerINS_8FractionImLm1ELm1EEELln1EEEEELb1EEENS_9Iterators16numeric_iteratorIllPlEEZN8rajaperf9algorithm10REDUCE_SUM17runHipVariantRAJAILm256ENSN_13gpu_algorithm19block_device_helperENSN_11gpu_mapping40global_loop_occupancy_grid_stride_helperEEEvNSN_9VariantIDEEUllE_lNS_4expt15ForallParamPackIJEEES7_SB_TnNSt9enable_ifIXaaaasr3std10is_base_ofINS5_15StridedLoopBaseET4_EE5valuesr3std10is_base_ofINS5_15UnsizedLoopBaseES12_EE5valuegtsrT5_10block_sizeLi0EEmE4typeELm256EEEvT1_T0_T2_T3_,comdat
	.protected	_ZN4RAJA6policy3hip4impl18forallp_hip_kernelINS1_8hip_execINS_17iteration_mapping11StridedLoopILm0EEENS_3hip11IndexGlobalILNS_9named_dimE0ELi256ELi0EEENS8_40AvoidDeviceMaxThreadOccupancyConcretizerINS8_34FractionOffsetOccupancyConcretizerINS_8FractionImLm1ELm1EEELln1EEEEELb1EEENS_9Iterators16numeric_iteratorIllPlEEZN8rajaperf9algorithm10REDUCE_SUM17runHipVariantRAJAILm256ENSN_13gpu_algorithm19block_device_helperENSN_11gpu_mapping40global_loop_occupancy_grid_stride_helperEEEvNSN_9VariantIDEEUllE_lNS_4expt15ForallParamPackIJEEES7_SB_TnNSt9enable_ifIXaaaasr3std10is_base_ofINS5_15StridedLoopBaseET4_EE5valuesr3std10is_base_ofINS5_15UnsizedLoopBaseES12_EE5valuegtsrT5_10block_sizeLi0EEmE4typeELm256EEEvT1_T0_T2_T3_ ; -- Begin function _ZN4RAJA6policy3hip4impl18forallp_hip_kernelINS1_8hip_execINS_17iteration_mapping11StridedLoopILm0EEENS_3hip11IndexGlobalILNS_9named_dimE0ELi256ELi0EEENS8_40AvoidDeviceMaxThreadOccupancyConcretizerINS8_34FractionOffsetOccupancyConcretizerINS_8FractionImLm1ELm1EEELln1EEEEELb1EEENS_9Iterators16numeric_iteratorIllPlEEZN8rajaperf9algorithm10REDUCE_SUM17runHipVariantRAJAILm256ENSN_13gpu_algorithm19block_device_helperENSN_11gpu_mapping40global_loop_occupancy_grid_stride_helperEEEvNSN_9VariantIDEEUllE_lNS_4expt15ForallParamPackIJEEES7_SB_TnNSt9enable_ifIXaaaasr3std10is_base_ofINS5_15StridedLoopBaseET4_EE5valuesr3std10is_base_ofINS5_15UnsizedLoopBaseES12_EE5valuegtsrT5_10block_sizeLi0EEmE4typeELm256EEEvT1_T0_T2_T3_
	.globl	_ZN4RAJA6policy3hip4impl18forallp_hip_kernelINS1_8hip_execINS_17iteration_mapping11StridedLoopILm0EEENS_3hip11IndexGlobalILNS_9named_dimE0ELi256ELi0EEENS8_40AvoidDeviceMaxThreadOccupancyConcretizerINS8_34FractionOffsetOccupancyConcretizerINS_8FractionImLm1ELm1EEELln1EEEEELb1EEENS_9Iterators16numeric_iteratorIllPlEEZN8rajaperf9algorithm10REDUCE_SUM17runHipVariantRAJAILm256ENSN_13gpu_algorithm19block_device_helperENSN_11gpu_mapping40global_loop_occupancy_grid_stride_helperEEEvNSN_9VariantIDEEUllE_lNS_4expt15ForallParamPackIJEEES7_SB_TnNSt9enable_ifIXaaaasr3std10is_base_ofINS5_15StridedLoopBaseET4_EE5valuesr3std10is_base_ofINS5_15UnsizedLoopBaseES12_EE5valuegtsrT5_10block_sizeLi0EEmE4typeELm256EEEvT1_T0_T2_T3_
	.p2align	8
	.type	_ZN4RAJA6policy3hip4impl18forallp_hip_kernelINS1_8hip_execINS_17iteration_mapping11StridedLoopILm0EEENS_3hip11IndexGlobalILNS_9named_dimE0ELi256ELi0EEENS8_40AvoidDeviceMaxThreadOccupancyConcretizerINS8_34FractionOffsetOccupancyConcretizerINS_8FractionImLm1ELm1EEELln1EEEEELb1EEENS_9Iterators16numeric_iteratorIllPlEEZN8rajaperf9algorithm10REDUCE_SUM17runHipVariantRAJAILm256ENSN_13gpu_algorithm19block_device_helperENSN_11gpu_mapping40global_loop_occupancy_grid_stride_helperEEEvNSN_9VariantIDEEUllE_lNS_4expt15ForallParamPackIJEEES7_SB_TnNSt9enable_ifIXaaaasr3std10is_base_ofINS5_15StridedLoopBaseET4_EE5valuesr3std10is_base_ofINS5_15UnsizedLoopBaseES12_EE5valuegtsrT5_10block_sizeLi0EEmE4typeELm256EEEvT1_T0_T2_T3_,@function
_ZN4RAJA6policy3hip4impl18forallp_hip_kernelINS1_8hip_execINS_17iteration_mapping11StridedLoopILm0EEENS_3hip11IndexGlobalILNS_9named_dimE0ELi256ELi0EEENS8_40AvoidDeviceMaxThreadOccupancyConcretizerINS8_34FractionOffsetOccupancyConcretizerINS_8FractionImLm1ELm1EEELln1EEEEELb1EEENS_9Iterators16numeric_iteratorIllPlEEZN8rajaperf9algorithm10REDUCE_SUM17runHipVariantRAJAILm256ENSN_13gpu_algorithm19block_device_helperENSN_11gpu_mapping40global_loop_occupancy_grid_stride_helperEEEvNSN_9VariantIDEEUllE_lNS_4expt15ForallParamPackIJEEES7_SB_TnNSt9enable_ifIXaaaasr3std10is_base_ofINS5_15StridedLoopBaseET4_EE5valuesr3std10is_base_ofINS5_15UnsizedLoopBaseES12_EE5valuegtsrT5_10block_sizeLi0EEmE4typeELm256EEEvT1_T0_T2_T3_: ; @_ZN4RAJA6policy3hip4impl18forallp_hip_kernelINS1_8hip_execINS_17iteration_mapping11StridedLoopILm0EEENS_3hip11IndexGlobalILNS_9named_dimE0ELi256ELi0EEENS8_40AvoidDeviceMaxThreadOccupancyConcretizerINS8_34FractionOffsetOccupancyConcretizerINS_8FractionImLm1ELm1EEELln1EEEEELb1EEENS_9Iterators16numeric_iteratorIllPlEEZN8rajaperf9algorithm10REDUCE_SUM17runHipVariantRAJAILm256ENSN_13gpu_algorithm19block_device_helperENSN_11gpu_mapping40global_loop_occupancy_grid_stride_helperEEEvNSN_9VariantIDEEUllE_lNS_4expt15ForallParamPackIJEEES7_SB_TnNSt9enable_ifIXaaaasr3std10is_base_ofINS5_15StridedLoopBaseET4_EE5valuesr3std10is_base_ofINS5_15UnsizedLoopBaseES12_EE5valuegtsrT5_10block_sizeLi0EEmE4typeELm256EEEvT1_T0_T2_T3_
; %bb.0:
	s_load_dwordx2 s[2:3], s[4:5], 0x48
	s_load_dwordx4 s[16:19], s[4:5], 0x18
	s_load_dwordx2 s[10:11], s[4:5], 0x28
	s_mov_b32 s0, s7
	s_mov_b32 s7, 0
	v_and_b32_e32 v1, 0x3ff, v0
	s_lshl_b64 s[12:13], s[6:7], 8
	v_or_b32_e32 v4, s12, v1
	v_mov_b32_e32 v5, s13
	s_waitcnt lgkmcnt(0)
	v_cmp_gt_i64_e32 vcc, s[2:3], v[4:5]
	v_pk_mov_b32 v[2:3], s[16:17], s[16:17] op_sel:[0,1]
	s_and_saveexec_b64 s[12:13], vcc
	s_cbranch_execz .LBB15_4
; %bb.1:
	s_load_dword s24, s[4:5], 0x58
	s_load_dwordx4 s[20:23], s[4:5], 0x38
	s_mov_b32 s25, s7
	s_lshl_b64 s[26:27], s[6:7], 11
	v_lshlrev_b32_e32 v2, 3, v1
	s_waitcnt lgkmcnt(0)
	s_lshl_b64 s[14:15], s[24:25], 8
	s_lshl_b64 s[22:23], s[22:23], 3
	s_add_u32 s1, s26, s22
	s_addc_u32 s7, s27, s23
	s_add_u32 s1, s20, s1
	s_addc_u32 s7, s21, s7
	v_mov_b32_e32 v3, s7
	v_add_co_u32_e32 v6, vcc, s1, v2
	s_lshl_b64 s[22:23], s[24:25], 11
	v_addc_co_u32_e32 v7, vcc, 0, v3, vcc
	s_mov_b64 s[20:21], 0
	v_pk_mov_b32 v[2:3], s[16:17], s[16:17] op_sel:[0,1]
	v_mov_b32_e32 v8, s23
	v_mov_b32_e32 v9, s15
.LBB15_2:                               ; =>This Inner Loop Header: Depth=1
	global_load_dwordx2 v[10:11], v[6:7], off
	v_add_co_u32_e32 v6, vcc, s22, v6
	v_addc_co_u32_e32 v7, vcc, v7, v8, vcc
	v_add_co_u32_e32 v4, vcc, s14, v4
	v_addc_co_u32_e32 v5, vcc, v5, v9, vcc
	v_cmp_le_i64_e32 vcc, s[2:3], v[4:5]
	s_or_b64 s[20:21], vcc, s[20:21]
	s_waitcnt vmcnt(0)
	v_add_f64 v[2:3], v[2:3], v[10:11]
	s_andn2_b64 exec, exec, s[20:21]
	s_cbranch_execnz .LBB15_2
; %bb.3:
	s_or_b64 exec, exec, s[20:21]
.LBB15_4:
	s_or_b64 exec, exec, s[12:13]
	s_load_dwordx4 s[12:15], s[4:5], 0x0
	s_waitcnt lgkmcnt(0)
	s_cmp_lg_u64 s[12:13], 0
	s_cbranch_scc0 .LBB15_6
.LBB15_5:
	s_endpgm
.LBB15_6:
	s_load_dwordx2 s[22:23], s[4:5], 0x58
	s_add_u32 s1, s4, 0x58
	v_mov_b32_e32 v4, 0
	global_load_dword v5, v4, s[4:5] offset:102
	s_addc_u32 s3, s5, 0
	s_waitcnt lgkmcnt(0)
	s_cmp_lt_u32 s6, s22
	s_cselect_b32 s2, 12, 18
	s_add_u32 s2, s1, s2
	s_addc_u32 s3, s3, 0
	global_load_ushort v4, v4, s[2:3]
	v_bfe_u32 v6, v0, 10, 10
	v_bfe_u32 v0, v0, 20, 10
	s_mov_b32 s21, 0
	s_waitcnt vmcnt(1)
	v_readfirstlane_b32 s1, v5
	s_lshr_b32 s2, s1, 16
	s_and_b32 s1, s1, 0xffff
	s_waitcnt vmcnt(0)
	v_readfirstlane_b32 s3, v4
	s_mul_i32 s1, s1, s3
	s_mul_i32 s2, s1, s2
	v_mul_u32_u24_e32 v5, v6, v4
	v_mul_lo_u32 v0, s1, v0
	s_ashr_i32 s3, s2, 31
	s_and_b32 s20, s2, 63
	v_add3_u32 v11, v5, v1, v0
	s_cmp_lg_u64 s[20:21], 0
	v_mbcnt_lo_u32_b32 v0, -1, 0
	s_cselect_b64 s[12:13], -1, 0
	s_cmp_eq_u64 s[20:21], 0
	v_mbcnt_hi_u32_b32 v10, -1, v0
	s_cbranch_scc1 .LBB15_42
; %bb.7:
	v_and_b32_e32 v6, 64, v10
	v_xor_b32_e32 v4, 1, v11
	v_and_or_b32 v0, v4, 63, v6
	v_lshlrev_b32_e32 v0, 2, v0
	ds_bpermute_b32 v1, v0, v3
	ds_bpermute_b32 v0, v0, v2
	v_cmp_gt_i32_e32 vcc, s2, v4
	s_waitcnt lgkmcnt(1)
	v_and_b32_e32 v5, 0xff00, v1
	v_and_b32_e32 v7, 0xff0000, v1
	;; [unrolled: 1-line block ×3, first 2 shown]
	v_or_b32_sdwa v1, v1, v5 dst_sel:DWORD dst_unused:UNUSED_PAD src0_sel:BYTE_0 src1_sel:DWORD
	v_or3_b32 v1, v1, v7, v8
	s_waitcnt lgkmcnt(0)
	v_or3_b32 v0, v0, 0, 0
	v_xor_b32_e32 v7, 2, v11
	v_add_f64 v[0:1], v[2:3], v[0:1]
	v_and_or_b32 v4, v7, 63, v6
	v_cndmask_b32_e32 v1, v3, v1, vcc
	v_lshlrev_b32_e32 v4, 2, v4
	ds_bpermute_b32 v5, v4, v1
	v_cndmask_b32_e32 v0, v2, v0, vcc
	ds_bpermute_b32 v4, v4, v0
	v_cmp_gt_i32_e32 vcc, s2, v7
	v_xor_b32_e32 v7, 4, v11
	s_waitcnt lgkmcnt(1)
	v_and_b32_e32 v8, 0xff00, v5
	v_and_b32_e32 v9, 0xff0000, v5
	v_or_b32_sdwa v8, v5, v8 dst_sel:DWORD dst_unused:UNUSED_PAD src0_sel:BYTE_0 src1_sel:DWORD
	v_and_b32_e32 v5, 0xff000000, v5
	v_or3_b32 v5, v8, v9, v5
	s_waitcnt lgkmcnt(0)
	v_or3_b32 v4, v4, 0, 0
	v_add_f64 v[4:5], v[0:1], v[4:5]
	v_cndmask_b32_e32 v1, v1, v5, vcc
	v_and_or_b32 v5, v7, 63, v6
	v_lshlrev_b32_e32 v5, 2, v5
	ds_bpermute_b32 v8, v5, v1
	v_cndmask_b32_e32 v0, v0, v4, vcc
	ds_bpermute_b32 v4, v5, v0
	v_cmp_gt_i32_e32 vcc, s2, v7
	v_xor_b32_e32 v7, 8, v11
	s_waitcnt lgkmcnt(1)
	v_and_b32_e32 v5, 0xff00, v8
	v_and_b32_e32 v9, 0xff0000, v8
	v_or_b32_sdwa v5, v8, v5 dst_sel:DWORD dst_unused:UNUSED_PAD src0_sel:BYTE_0 src1_sel:DWORD
	v_and_b32_e32 v8, 0xff000000, v8
	v_or3_b32 v5, v5, v9, v8
	s_waitcnt lgkmcnt(0)
	v_or3_b32 v4, v4, 0, 0
	v_add_f64 v[4:5], v[0:1], v[4:5]
	v_cndmask_b32_e32 v1, v1, v5, vcc
	v_and_or_b32 v5, v7, 63, v6
	;; [unrolled: 17-line block ×4, first 2 shown]
	v_lshlrev_b32_e32 v5, 2, v5
	ds_bpermute_b32 v6, v5, v1
	v_cndmask_b32_e32 v0, v0, v4, vcc
	ds_bpermute_b32 v4, v5, v0
	v_cmp_gt_i32_e32 vcc, s2, v7
	s_waitcnt lgkmcnt(1)
	v_and_b32_e32 v5, 0xff00, v6
	v_and_b32_e32 v8, 0xff0000, v6
	v_or_b32_sdwa v5, v6, v5 dst_sel:DWORD dst_unused:UNUSED_PAD src0_sel:BYTE_0 src1_sel:DWORD
	v_and_b32_e32 v6, 0xff000000, v6
	v_or3_b32 v5, v5, v8, v6
	s_waitcnt lgkmcnt(0)
	v_or3_b32 v4, v4, 0, 0
	v_add_f64 v[4:5], v[0:1], v[4:5]
	v_cndmask_b32_e32 v1, v1, v5, vcc
	v_cndmask_b32_e32 v0, v0, v4, vcc
	s_cbranch_execnz .LBB15_9
.LBB15_8:
	v_and_b32_e32 v0, 64, v10
	v_add_u32_e32 v6, 64, v0
	v_xor_b32_e32 v0, 1, v10
	v_cmp_lt_i32_e32 vcc, v0, v6
	v_cndmask_b32_e32 v0, v10, v0, vcc
	v_lshlrev_b32_e32 v0, 2, v0
	ds_bpermute_b32 v1, v0, v3
	ds_bpermute_b32 v0, v0, v2
	s_waitcnt lgkmcnt(1)
	v_and_b32_e32 v4, 0xff00, v1
	v_and_b32_e32 v5, 0xff0000, v1
	v_or_b32_sdwa v4, v1, v4 dst_sel:DWORD dst_unused:UNUSED_PAD src0_sel:BYTE_0 src1_sel:DWORD
	v_and_b32_e32 v1, 0xff000000, v1
	v_or3_b32 v1, v4, v5, v1
	v_xor_b32_e32 v4, 2, v10
	v_cmp_lt_i32_e32 vcc, v4, v6
	s_waitcnt lgkmcnt(0)
	v_or3_b32 v0, v0, 0, 0
	v_cndmask_b32_e32 v4, v10, v4, vcc
	v_add_f64 v[0:1], v[2:3], v[0:1]
	v_lshlrev_b32_e32 v4, 2, v4
	ds_bpermute_b32 v5, v4, v1
	ds_bpermute_b32 v4, v4, v0
	s_waitcnt lgkmcnt(1)
	v_and_b32_e32 v7, 0xff00, v5
	v_and_b32_e32 v8, 0xff0000, v5
	v_or_b32_sdwa v7, v5, v7 dst_sel:DWORD dst_unused:UNUSED_PAD src0_sel:BYTE_0 src1_sel:DWORD
	v_and_b32_e32 v5, 0xff000000, v5
	v_or3_b32 v5, v7, v8, v5
	s_waitcnt lgkmcnt(0)
	v_or3_b32 v4, v4, 0, 0
	v_add_f64 v[0:1], v[0:1], v[4:5]
	v_xor_b32_e32 v4, 4, v10
	v_cmp_lt_i32_e32 vcc, v4, v6
	v_cndmask_b32_e32 v4, v10, v4, vcc
	v_lshlrev_b32_e32 v4, 2, v4
	ds_bpermute_b32 v5, v4, v1
	ds_bpermute_b32 v4, v4, v0
	s_waitcnt lgkmcnt(1)
	v_and_b32_e32 v7, 0xff00, v5
	v_and_b32_e32 v8, 0xff0000, v5
	v_or_b32_sdwa v7, v5, v7 dst_sel:DWORD dst_unused:UNUSED_PAD src0_sel:BYTE_0 src1_sel:DWORD
	v_and_b32_e32 v5, 0xff000000, v5
	v_or3_b32 v5, v7, v8, v5
	s_waitcnt lgkmcnt(0)
	v_or3_b32 v4, v4, 0, 0
	v_add_f64 v[0:1], v[0:1], v[4:5]
	v_xor_b32_e32 v4, 8, v10
	v_cmp_lt_i32_e32 vcc, v4, v6
	v_cndmask_b32_e32 v4, v10, v4, vcc
	;; [unrolled: 15-line block ×4, first 2 shown]
	v_lshlrev_b32_e32 v4, 2, v4
	ds_bpermute_b32 v5, v4, v1
	ds_bpermute_b32 v4, v4, v0
	s_waitcnt lgkmcnt(1)
	v_and_b32_e32 v6, 0xff00, v5
	v_and_b32_e32 v7, 0xff0000, v5
	v_or_b32_sdwa v6, v5, v6 dst_sel:DWORD dst_unused:UNUSED_PAD src0_sel:BYTE_0 src1_sel:DWORD
	v_and_b32_e32 v5, 0xff000000, v5
	v_or3_b32 v5, v6, v7, v5
	s_waitcnt lgkmcnt(0)
	v_or3_b32 v4, v4, 0, 0
	v_add_f64 v[0:1], v[0:1], v[4:5]
.LBB15_9:
	v_ashrrev_i32_e32 v12, 31, v11
	s_load_dword s1, s[4:5], 0x60
	v_lshrrev_b32_e32 v4, 26, v12
	v_add_u32_e32 v4, v11, v4
	v_ashrrev_i32_e32 v13, 6, v4
	v_and_b32_e32 v4, 0xffffffc0, v4
	v_sub_u32_e32 v4, v11, v4
	s_cmp_gt_i32 s2, 64
	s_cselect_b64 s[20:21], -1, 0
	s_cmpk_lt_i32 s2, 0x41
	v_ashrrev_i32_e32 v5, 31, v4
	s_cbranch_scc1 .LBB15_17
; %bb.10:
	v_cmp_eq_u32_e32 vcc, 0, v4
	s_and_saveexec_b64 s[4:5], vcc
	s_cbranch_execz .LBB15_12
; %bb.11:
	v_lshlrev_b32_e32 v6, 3, v13
	ds_write_b64 v6, v[0:1]
.LBB15_12:
	s_or_b64 exec, exec, s[4:5]
	v_add_co_u32_e32 v6, vcc, 63, v11
	v_addc_co_u32_e32 v7, vcc, 0, v12, vcc
	s_mov_b64 s[4:5], 0x7f
	v_cmp_gt_u64_e32 vcc, s[4:5], v[6:7]
	s_waitcnt lgkmcnt(0)
	s_barrier
	s_and_saveexec_b64 s[4:5], vcc
	s_cbranch_execz .LBB15_16
; %bb.13:
	v_lshlrev_b64 v[0:1], 6, v[4:5]
	v_cmp_gt_i64_e32 vcc, s[2:3], v[0:1]
	v_pk_mov_b32 v[0:1], s[16:17], s[16:17] op_sel:[0,1]
	s_and_saveexec_b64 s[24:25], vcc
	s_cbranch_execz .LBB15_15
; %bb.14:
	v_lshlrev_b32_e32 v0, 3, v4
	ds_read_b64 v[0:1], v0
.LBB15_15:
	s_or_b64 exec, exec, s[24:25]
	v_and_b32_e32 v6, 64, v10
	v_add_u32_e32 v8, 64, v6
	v_xor_b32_e32 v6, 1, v10
	v_cmp_lt_i32_e32 vcc, v6, v8
	v_cndmask_b32_e32 v6, v10, v6, vcc
	v_lshlrev_b32_e32 v6, 2, v6
	s_waitcnt lgkmcnt(0)
	ds_bpermute_b32 v7, v6, v1
	ds_bpermute_b32 v6, v6, v0
	s_waitcnt lgkmcnt(1)
	v_and_b32_e32 v9, 0xff00, v7
	v_and_b32_e32 v14, 0xff0000, v7
	v_or_b32_sdwa v9, v7, v9 dst_sel:DWORD dst_unused:UNUSED_PAD src0_sel:BYTE_0 src1_sel:DWORD
	v_and_b32_e32 v7, 0xff000000, v7
	v_or3_b32 v7, v9, v14, v7
	s_waitcnt lgkmcnt(0)
	v_or3_b32 v6, v6, 0, 0
	v_add_f64 v[0:1], v[0:1], v[6:7]
	v_xor_b32_e32 v6, 2, v10
	v_cmp_lt_i32_e32 vcc, v6, v8
	v_cndmask_b32_e32 v6, v10, v6, vcc
	v_lshlrev_b32_e32 v6, 2, v6
	ds_bpermute_b32 v7, v6, v1
	ds_bpermute_b32 v6, v6, v0
	s_waitcnt lgkmcnt(1)
	v_and_b32_e32 v9, 0xff00, v7
	v_and_b32_e32 v14, 0xff0000, v7
	v_or_b32_sdwa v9, v7, v9 dst_sel:DWORD dst_unused:UNUSED_PAD src0_sel:BYTE_0 src1_sel:DWORD
	v_and_b32_e32 v7, 0xff000000, v7
	v_or3_b32 v7, v9, v14, v7
	s_waitcnt lgkmcnt(0)
	v_or3_b32 v6, v6, 0, 0
	v_add_f64 v[0:1], v[0:1], v[6:7]
	v_xor_b32_e32 v6, 4, v10
	v_cmp_lt_i32_e32 vcc, v6, v8
	v_cndmask_b32_e32 v6, v10, v6, vcc
	v_lshlrev_b32_e32 v6, 2, v6
	ds_bpermute_b32 v7, v6, v1
	ds_bpermute_b32 v6, v6, v0
	s_waitcnt lgkmcnt(1)
	v_and_b32_e32 v9, 0xff00, v7
	v_and_b32_e32 v14, 0xff0000, v7
	v_or_b32_sdwa v9, v7, v9 dst_sel:DWORD dst_unused:UNUSED_PAD src0_sel:BYTE_0 src1_sel:DWORD
	v_and_b32_e32 v7, 0xff000000, v7
	v_or3_b32 v7, v9, v14, v7
	s_waitcnt lgkmcnt(0)
	v_or3_b32 v6, v6, 0, 0
	v_add_f64 v[0:1], v[0:1], v[6:7]
	v_xor_b32_e32 v6, 8, v10
	v_cmp_lt_i32_e32 vcc, v6, v8
	v_cndmask_b32_e32 v6, v10, v6, vcc
	v_lshlrev_b32_e32 v6, 2, v6
	ds_bpermute_b32 v7, v6, v1
	ds_bpermute_b32 v6, v6, v0
	s_waitcnt lgkmcnt(1)
	v_and_b32_e32 v8, 0xff00, v7
	v_and_b32_e32 v9, 0xff0000, v7
	v_or_b32_sdwa v8, v7, v8 dst_sel:DWORD dst_unused:UNUSED_PAD src0_sel:BYTE_0 src1_sel:DWORD
	v_and_b32_e32 v7, 0xff000000, v7
	v_or3_b32 v7, v8, v9, v7
	s_waitcnt lgkmcnt(0)
	v_or3_b32 v6, v6, 0, 0
	v_add_f64 v[0:1], v[0:1], v[6:7]
.LBB15_16:
	s_or_b64 exec, exec, s[4:5]
	s_barrier
.LBB15_17:
	s_mul_i32 s0, s22, s0
	s_mul_i32 s4, s23, s22
	s_add_i32 s0, s0, s6
	s_mul_i32 s5, s4, s8
	s_add_i32 s0, s0, s5
	s_waitcnt lgkmcnt(0)
	s_mul_i32 s6, s1, s4
	s_ashr_i32 s1, s0, 31
	s_lshr_b32 s1, s1, 27
	s_add_i32 s8, s0, s1
	s_and_b32 s1, s8, 0xffffffe0
	s_sub_i32 s4, s0, s1
	s_ashr_i32 s0, s6, 31
	s_lshr_b32 s0, s0, 27
	s_add_i32 s0, s6, s0
	s_ashr_i32 s5, s0, 5
	s_andn2_b32 s0, s0, 31
	s_sub_i32 s0, s6, s0
	s_cmp_lt_i32 s4, s0
	s_cselect_b64 s[0:1], -1, 0
	s_cmp_lg_u64 s[0:1], 0
	s_addc_u32 s5, s5, 0
	s_cmp_gt_u32 s5, 1
	v_cmp_eq_u32_e64 s[0:1], 0, v11
	s_cbranch_scc0 .LBB15_38
; %bb.18:
	s_add_i32 s6, s6, 31
	s_ashr_i32 s7, s6, 31
	s_lshr_b32 s7, s7, 27
	s_add_i32 s6, s6, s7
	s_ashr_i32 s22, s6, 5
	s_mul_i32 s22, s22, s4
	s_and_saveexec_b64 s[6:7], s[0:1]
	s_cbranch_execz .LBB15_20
; %bb.19:
	s_ashr_i32 s9, s8, 5
	s_add_i32 s24, s22, s9
	s_ashr_i32 s25, s24, 31
	s_lshl_b32 s8, s4, 3
	s_lshl_b64 s[24:25], s[24:25], 3
	s_add_u32 s24, s10, s24
	s_addc_u32 s25, s11, s25
	s_ashr_i32 s9, s8, 31
	s_lshl_b64 s[8:9], s[8:9], 2
	s_add_u32 s8, s18, s8
	v_pk_mov_b32 v[6:7], s[24:25], s[24:25] op_sel:[0,1]
	s_addc_u32 s9, s19, s9
	s_add_i32 s18, s5, -1
	flat_store_dwordx2 v[6:7], v[0:1]
	v_mov_b32_e32 v6, 0
	v_mov_b32_e32 v7, s18
	s_waitcnt vmcnt(0) lgkmcnt(0)
	global_atomic_inc v7, v6, v7, s[8:9] glc
	s_waitcnt vmcnt(0)
	v_cmp_eq_u32_e32 vcc, s18, v7
	v_cndmask_b32_e64 v7, 0, 1, vcc
	ds_write_b8 v6, v7 offset:128
.LBB15_20:
	s_or_b64 exec, exec, s[6:7]
	v_mov_b32_e32 v6, 0
	s_waitcnt lgkmcnt(0)
	s_barrier
	ds_read_u8 v6, v6 offset:128
	s_mov_b64 s[6:7], 0
	s_waitcnt lgkmcnt(0)
	v_cmp_eq_u32_e32 vcc, 0, v6
	v_pk_mov_b32 v[6:7], v[2:3], v[2:3] op_sel:[0,1]
	s_cbranch_vccnz .LBB15_37
; %bb.21:
	v_cmp_gt_u32_e32 vcc, s5, v11
	v_pk_mov_b32 v[6:7], s[16:17], s[16:17] op_sel:[0,1]
	s_and_saveexec_b64 s[6:7], vcc
	s_cbranch_execz .LBB15_25
; %bb.22:
	s_mov_b64 s[8:9], 0
	v_pk_mov_b32 v[6:7], s[16:17], s[16:17] op_sel:[0,1]
	v_mov_b32_e32 v9, 0
	v_mov_b32_e32 v14, s11
	;; [unrolled: 1-line block ×3, first 2 shown]
.LBB15_23:                              ; =>This Inner Loop Header: Depth=1
	v_add_u32_e32 v8, s22, v15
	v_lshlrev_b64 v[16:17], 3, v[8:9]
	v_add_co_u32_e32 v16, vcc, s10, v16
	v_addc_co_u32_e32 v17, vcc, v14, v17, vcc
	flat_load_dwordx2 v[16:17], v[16:17] glc
	v_add_u32_e32 v15, s2, v15
	v_cmp_le_u32_e32 vcc, s5, v15
	s_or_b64 s[8:9], vcc, s[8:9]
	s_waitcnt vmcnt(0) lgkmcnt(0)
	v_add_f64 v[6:7], v[6:7], v[16:17]
	s_andn2_b64 exec, exec, s[8:9]
	s_cbranch_execnz .LBB15_23
; %bb.24:
	s_or_b64 exec, exec, s[8:9]
.LBB15_25:
	s_or_b64 exec, exec, s[6:7]
	s_andn2_b64 vcc, exec, s[12:13]
	s_cbranch_vccnz .LBB15_43
; %bb.26:
	v_and_b32_e32 v16, 64, v10
	v_xor_b32_e32 v14, 1, v11
	v_and_or_b32 v8, v14, 63, v16
	v_lshlrev_b32_e32 v8, 2, v8
	ds_bpermute_b32 v9, v8, v7
	ds_bpermute_b32 v8, v8, v6
	v_cmp_gt_i32_e32 vcc, s2, v14
	s_waitcnt lgkmcnt(1)
	v_and_b32_e32 v15, 0xff00, v9
	v_and_b32_e32 v17, 0xff0000, v9
	;; [unrolled: 1-line block ×3, first 2 shown]
	v_or_b32_sdwa v9, v9, v15 dst_sel:DWORD dst_unused:UNUSED_PAD src0_sel:BYTE_0 src1_sel:DWORD
	v_or3_b32 v9, v9, v17, v18
	s_waitcnt lgkmcnt(0)
	v_or3_b32 v8, v8, 0, 0
	v_xor_b32_e32 v17, 2, v11
	v_add_f64 v[8:9], v[6:7], v[8:9]
	v_and_or_b32 v14, v17, 63, v16
	v_cndmask_b32_e32 v9, v7, v9, vcc
	v_lshlrev_b32_e32 v14, 2, v14
	ds_bpermute_b32 v15, v14, v9
	v_cndmask_b32_e32 v8, v6, v8, vcc
	ds_bpermute_b32 v14, v14, v8
	v_cmp_gt_i32_e32 vcc, s2, v17
	v_xor_b32_e32 v17, 4, v11
	s_waitcnt lgkmcnt(1)
	v_and_b32_e32 v18, 0xff00, v15
	v_and_b32_e32 v19, 0xff0000, v15
	v_or_b32_sdwa v18, v15, v18 dst_sel:DWORD dst_unused:UNUSED_PAD src0_sel:BYTE_0 src1_sel:DWORD
	v_and_b32_e32 v15, 0xff000000, v15
	v_or3_b32 v15, v18, v19, v15
	s_waitcnt lgkmcnt(0)
	v_or3_b32 v14, v14, 0, 0
	v_add_f64 v[14:15], v[8:9], v[14:15]
	v_cndmask_b32_e32 v9, v9, v15, vcc
	v_and_or_b32 v15, v17, 63, v16
	v_lshlrev_b32_e32 v15, 2, v15
	ds_bpermute_b32 v18, v15, v9
	v_cndmask_b32_e32 v8, v8, v14, vcc
	ds_bpermute_b32 v14, v15, v8
	v_cmp_gt_i32_e32 vcc, s2, v17
	v_xor_b32_e32 v17, 8, v11
	s_waitcnt lgkmcnt(1)
	v_and_b32_e32 v15, 0xff00, v18
	v_and_b32_e32 v19, 0xff0000, v18
	v_or_b32_sdwa v15, v18, v15 dst_sel:DWORD dst_unused:UNUSED_PAD src0_sel:BYTE_0 src1_sel:DWORD
	v_and_b32_e32 v18, 0xff000000, v18
	v_or3_b32 v15, v15, v19, v18
	s_waitcnt lgkmcnt(0)
	v_or3_b32 v14, v14, 0, 0
	v_add_f64 v[14:15], v[8:9], v[14:15]
	v_cndmask_b32_e32 v9, v9, v15, vcc
	v_and_or_b32 v15, v17, 63, v16
	;; [unrolled: 17-line block ×4, first 2 shown]
	v_lshlrev_b32_e32 v15, 2, v15
	ds_bpermute_b32 v16, v15, v9
	v_cndmask_b32_e32 v8, v8, v14, vcc
	ds_bpermute_b32 v14, v15, v8
	v_cmp_gt_i32_e32 vcc, s2, v17
	s_waitcnt lgkmcnt(1)
	v_and_b32_e32 v15, 0xff00, v16
	v_and_b32_e32 v18, 0xff0000, v16
	v_or_b32_sdwa v15, v16, v15 dst_sel:DWORD dst_unused:UNUSED_PAD src0_sel:BYTE_0 src1_sel:DWORD
	v_and_b32_e32 v16, 0xff000000, v16
	v_or3_b32 v15, v15, v18, v16
	s_waitcnt lgkmcnt(0)
	v_or3_b32 v14, v14, 0, 0
	v_add_f64 v[14:15], v[8:9], v[14:15]
	v_cndmask_b32_e32 v9, v9, v15, vcc
	v_cndmask_b32_e32 v8, v8, v14, vcc
	s_cbranch_execnz .LBB15_28
.LBB15_27:
	v_and_b32_e32 v8, 64, v10
	v_add_u32_e32 v14, 64, v8
	v_xor_b32_e32 v8, 1, v10
	v_cmp_lt_i32_e32 vcc, v8, v14
	v_cndmask_b32_e32 v8, v10, v8, vcc
	v_lshlrev_b32_e32 v8, 2, v8
	ds_bpermute_b32 v9, v8, v7
	ds_bpermute_b32 v8, v8, v6
	s_waitcnt lgkmcnt(1)
	v_and_b32_e32 v15, 0xff00, v9
	v_and_b32_e32 v16, 0xff0000, v9
	v_or_b32_sdwa v15, v9, v15 dst_sel:DWORD dst_unused:UNUSED_PAD src0_sel:BYTE_0 src1_sel:DWORD
	v_and_b32_e32 v9, 0xff000000, v9
	v_or3_b32 v9, v15, v16, v9
	s_waitcnt lgkmcnt(0)
	v_or3_b32 v8, v8, 0, 0
	v_add_f64 v[6:7], v[6:7], v[8:9]
	v_xor_b32_e32 v8, 2, v10
	v_cmp_lt_i32_e32 vcc, v8, v14
	v_cndmask_b32_e32 v8, v10, v8, vcc
	v_lshlrev_b32_e32 v8, 2, v8
	ds_bpermute_b32 v9, v8, v7
	ds_bpermute_b32 v8, v8, v6
	s_waitcnt lgkmcnt(1)
	v_and_b32_e32 v15, 0xff00, v9
	v_and_b32_e32 v16, 0xff0000, v9
	v_or_b32_sdwa v15, v9, v15 dst_sel:DWORD dst_unused:UNUSED_PAD src0_sel:BYTE_0 src1_sel:DWORD
	v_and_b32_e32 v9, 0xff000000, v9
	v_or3_b32 v9, v15, v16, v9
	s_waitcnt lgkmcnt(0)
	v_or3_b32 v8, v8, 0, 0
	v_add_f64 v[6:7], v[6:7], v[8:9]
	;; [unrolled: 15-line block ×6, first 2 shown]
.LBB15_28:
	s_andn2_b64 vcc, exec, s[20:21]
	s_cbranch_vccnz .LBB15_36
; %bb.29:
	v_cmp_eq_u32_e32 vcc, 0, v4
	s_and_saveexec_b64 s[6:7], vcc
	s_cbranch_execz .LBB15_31
; %bb.30:
	v_lshlrev_b32_e32 v6, 3, v13
	ds_write_b64 v6, v[8:9]
.LBB15_31:
	s_or_b64 exec, exec, s[6:7]
	v_add_co_u32_e32 v6, vcc, 63, v11
	v_addc_co_u32_e32 v7, vcc, 0, v12, vcc
	s_mov_b64 s[6:7], 0x7f
	v_cmp_gt_u64_e32 vcc, s[6:7], v[6:7]
	s_waitcnt lgkmcnt(0)
	s_barrier
	s_and_saveexec_b64 s[6:7], vcc
	s_cbranch_execz .LBB15_35
; %bb.32:
	v_lshlrev_b64 v[6:7], 6, v[4:5]
	v_cmp_gt_i64_e32 vcc, s[2:3], v[6:7]
	v_pk_mov_b32 v[6:7], s[16:17], s[16:17] op_sel:[0,1]
	s_and_saveexec_b64 s[2:3], vcc
	s_cbranch_execz .LBB15_34
; %bb.33:
	v_lshlrev_b32_e32 v4, 3, v4
	ds_read_b64 v[6:7], v4
.LBB15_34:
	s_or_b64 exec, exec, s[2:3]
	v_and_b32_e32 v4, 64, v10
	v_add_u32_e32 v8, 64, v4
	v_xor_b32_e32 v4, 1, v10
	v_cmp_lt_i32_e32 vcc, v4, v8
	v_cndmask_b32_e32 v4, v10, v4, vcc
	v_lshlrev_b32_e32 v4, 2, v4
	s_waitcnt lgkmcnt(0)
	ds_bpermute_b32 v5, v4, v7
	ds_bpermute_b32 v4, v4, v6
	s_waitcnt lgkmcnt(1)
	v_and_b32_e32 v9, 0xff00, v5
	v_and_b32_e32 v11, 0xff0000, v5
	v_or_b32_sdwa v9, v5, v9 dst_sel:DWORD dst_unused:UNUSED_PAD src0_sel:BYTE_0 src1_sel:DWORD
	v_and_b32_e32 v5, 0xff000000, v5
	v_or3_b32 v5, v9, v11, v5
	s_waitcnt lgkmcnt(0)
	v_or3_b32 v4, v4, 0, 0
	v_add_f64 v[4:5], v[6:7], v[4:5]
	v_xor_b32_e32 v6, 2, v10
	v_cmp_lt_i32_e32 vcc, v6, v8
	v_cndmask_b32_e32 v6, v10, v6, vcc
	v_lshlrev_b32_e32 v6, 2, v6
	ds_bpermute_b32 v7, v6, v5
	ds_bpermute_b32 v6, v6, v4
	s_waitcnt lgkmcnt(1)
	v_and_b32_e32 v9, 0xff00, v7
	v_and_b32_e32 v11, 0xff0000, v7
	v_or_b32_sdwa v9, v7, v9 dst_sel:DWORD dst_unused:UNUSED_PAD src0_sel:BYTE_0 src1_sel:DWORD
	v_and_b32_e32 v7, 0xff000000, v7
	v_or3_b32 v7, v9, v11, v7
	s_waitcnt lgkmcnt(0)
	v_or3_b32 v6, v6, 0, 0
	v_add_f64 v[4:5], v[4:5], v[6:7]
	v_xor_b32_e32 v6, 4, v10
	v_cmp_lt_i32_e32 vcc, v6, v8
	v_cndmask_b32_e32 v6, v10, v6, vcc
	v_lshlrev_b32_e32 v6, 2, v6
	ds_bpermute_b32 v7, v6, v5
	ds_bpermute_b32 v6, v6, v4
	s_waitcnt lgkmcnt(1)
	v_and_b32_e32 v9, 0xff00, v7
	v_and_b32_e32 v11, 0xff0000, v7
	v_or_b32_sdwa v9, v7, v9 dst_sel:DWORD dst_unused:UNUSED_PAD src0_sel:BYTE_0 src1_sel:DWORD
	v_and_b32_e32 v7, 0xff000000, v7
	v_or3_b32 v7, v9, v11, v7
	s_waitcnt lgkmcnt(0)
	v_or3_b32 v6, v6, 0, 0
	v_add_f64 v[4:5], v[4:5], v[6:7]
	v_xor_b32_e32 v6, 8, v10
	v_cmp_lt_i32_e32 vcc, v6, v8
	v_cndmask_b32_e32 v6, v10, v6, vcc
	v_lshlrev_b32_e32 v6, 2, v6
	ds_bpermute_b32 v7, v6, v5
	ds_bpermute_b32 v6, v6, v4
	s_waitcnt lgkmcnt(1)
	v_and_b32_e32 v8, 0xff00, v7
	v_and_b32_e32 v9, 0xff0000, v7
	v_or_b32_sdwa v8, v7, v8 dst_sel:DWORD dst_unused:UNUSED_PAD src0_sel:BYTE_0 src1_sel:DWORD
	v_and_b32_e32 v7, 0xff000000, v7
	v_or3_b32 v7, v8, v9, v7
	s_waitcnt lgkmcnt(0)
	v_or3_b32 v6, v6, 0, 0
	v_add_f64 v[8:9], v[4:5], v[6:7]
.LBB15_35:
	s_or_b64 exec, exec, s[6:7]
	s_barrier
.LBB15_36:
	v_mov_b32_e32 v4, 0
	ds_read_u8 v4, v4 offset:128
	v_cndmask_b32_e64 v7, v3, v9, s[0:1]
	v_cndmask_b32_e64 v6, v2, v8, s[0:1]
	s_waitcnt lgkmcnt(0)
	v_and_b32_e32 v4, 1, v4
	v_cmp_eq_u32_e64 s[6:7], 1, v4
.LBB15_37:
	s_and_b64 s[2:3], s[0:1], s[6:7]
	s_branch .LBB15_40
.LBB15_38:
                                        ; implicit-def: $sgpr2_sgpr3
                                        ; implicit-def: $vgpr6_vgpr7
	s_cbranch_execz .LBB15_40
; %bb.39:
	v_cndmask_b32_e64 v7, v3, v1, s[0:1]
	v_cndmask_b32_e64 v6, v2, v0, s[0:1]
	s_andn2_b64 s[2:3], s[2:3], exec
	s_and_b64 s[0:1], s[0:1], exec
	s_or_b64 s[2:3], s[2:3], s[0:1]
.LBB15_40:
	s_and_saveexec_b64 s[0:1], s[2:3]
	s_cbranch_execz .LBB15_5
; %bb.41:
	s_ashr_i32 s5, s4, 31
	s_lshl_b64 s[0:1], s[4:5], 3
	s_add_u32 s0, s14, s0
	s_addc_u32 s1, s15, s1
	v_pk_mov_b32 v[0:1], s[0:1], s[0:1] op_sel:[0,1]
	flat_store_dwordx2 v[0:1], v[6:7]
	s_endpgm
.LBB15_42:
                                        ; implicit-def: $vgpr0_vgpr1
	s_branch .LBB15_8
.LBB15_43:
                                        ; implicit-def: $vgpr8_vgpr9
	s_branch .LBB15_27
	.section	.rodata,"a",@progbits
	.p2align	6, 0x0
	.amdhsa_kernel _ZN4RAJA6policy3hip4impl18forallp_hip_kernelINS1_8hip_execINS_17iteration_mapping11StridedLoopILm0EEENS_3hip11IndexGlobalILNS_9named_dimE0ELi256ELi0EEENS8_40AvoidDeviceMaxThreadOccupancyConcretizerINS8_34FractionOffsetOccupancyConcretizerINS_8FractionImLm1ELm1EEELln1EEEEELb1EEENS_9Iterators16numeric_iteratorIllPlEEZN8rajaperf9algorithm10REDUCE_SUM17runHipVariantRAJAILm256ENSN_13gpu_algorithm19block_device_helperENSN_11gpu_mapping40global_loop_occupancy_grid_stride_helperEEEvNSN_9VariantIDEEUllE_lNS_4expt15ForallParamPackIJEEES7_SB_TnNSt9enable_ifIXaaaasr3std10is_base_ofINS5_15StridedLoopBaseET4_EE5valuesr3std10is_base_ofINS5_15UnsizedLoopBaseES12_EE5valuegtsrT5_10block_sizeLi0EEmE4typeELm256EEEvT1_T0_T2_T3_
		.amdhsa_group_segment_fixed_size 129
		.amdhsa_private_segment_fixed_size 0
		.amdhsa_kernarg_size 344
		.amdhsa_user_sgpr_count 6
		.amdhsa_user_sgpr_private_segment_buffer 1
		.amdhsa_user_sgpr_dispatch_ptr 0
		.amdhsa_user_sgpr_queue_ptr 0
		.amdhsa_user_sgpr_kernarg_segment_ptr 1
		.amdhsa_user_sgpr_dispatch_id 0
		.amdhsa_user_sgpr_flat_scratch_init 0
		.amdhsa_user_sgpr_kernarg_preload_length 0
		.amdhsa_user_sgpr_kernarg_preload_offset 0
		.amdhsa_user_sgpr_private_segment_size 0
		.amdhsa_uses_dynamic_stack 0
		.amdhsa_system_sgpr_private_segment_wavefront_offset 0
		.amdhsa_system_sgpr_workgroup_id_x 1
		.amdhsa_system_sgpr_workgroup_id_y 1
		.amdhsa_system_sgpr_workgroup_id_z 1
		.amdhsa_system_sgpr_workgroup_info 0
		.amdhsa_system_vgpr_workitem_id 2
		.amdhsa_next_free_vgpr 20
		.amdhsa_next_free_sgpr 28
		.amdhsa_accum_offset 20
		.amdhsa_reserve_vcc 1
		.amdhsa_reserve_flat_scratch 0
		.amdhsa_float_round_mode_32 0
		.amdhsa_float_round_mode_16_64 0
		.amdhsa_float_denorm_mode_32 3
		.amdhsa_float_denorm_mode_16_64 3
		.amdhsa_dx10_clamp 1
		.amdhsa_ieee_mode 1
		.amdhsa_fp16_overflow 0
		.amdhsa_tg_split 0
		.amdhsa_exception_fp_ieee_invalid_op 0
		.amdhsa_exception_fp_denorm_src 0
		.amdhsa_exception_fp_ieee_div_zero 0
		.amdhsa_exception_fp_ieee_overflow 0
		.amdhsa_exception_fp_ieee_underflow 0
		.amdhsa_exception_fp_ieee_inexact 0
		.amdhsa_exception_int_div_zero 0
	.end_amdhsa_kernel
	.section	.text._ZN4RAJA6policy3hip4impl18forallp_hip_kernelINS1_8hip_execINS_17iteration_mapping11StridedLoopILm0EEENS_3hip11IndexGlobalILNS_9named_dimE0ELi256ELi0EEENS8_40AvoidDeviceMaxThreadOccupancyConcretizerINS8_34FractionOffsetOccupancyConcretizerINS_8FractionImLm1ELm1EEELln1EEEEELb1EEENS_9Iterators16numeric_iteratorIllPlEEZN8rajaperf9algorithm10REDUCE_SUM17runHipVariantRAJAILm256ENSN_13gpu_algorithm19block_device_helperENSN_11gpu_mapping40global_loop_occupancy_grid_stride_helperEEEvNSN_9VariantIDEEUllE_lNS_4expt15ForallParamPackIJEEES7_SB_TnNSt9enable_ifIXaaaasr3std10is_base_ofINS5_15StridedLoopBaseET4_EE5valuesr3std10is_base_ofINS5_15UnsizedLoopBaseES12_EE5valuegtsrT5_10block_sizeLi0EEmE4typeELm256EEEvT1_T0_T2_T3_,"axG",@progbits,_ZN4RAJA6policy3hip4impl18forallp_hip_kernelINS1_8hip_execINS_17iteration_mapping11StridedLoopILm0EEENS_3hip11IndexGlobalILNS_9named_dimE0ELi256ELi0EEENS8_40AvoidDeviceMaxThreadOccupancyConcretizerINS8_34FractionOffsetOccupancyConcretizerINS_8FractionImLm1ELm1EEELln1EEEEELb1EEENS_9Iterators16numeric_iteratorIllPlEEZN8rajaperf9algorithm10REDUCE_SUM17runHipVariantRAJAILm256ENSN_13gpu_algorithm19block_device_helperENSN_11gpu_mapping40global_loop_occupancy_grid_stride_helperEEEvNSN_9VariantIDEEUllE_lNS_4expt15ForallParamPackIJEEES7_SB_TnNSt9enable_ifIXaaaasr3std10is_base_ofINS5_15StridedLoopBaseET4_EE5valuesr3std10is_base_ofINS5_15UnsizedLoopBaseES12_EE5valuegtsrT5_10block_sizeLi0EEmE4typeELm256EEEvT1_T0_T2_T3_,comdat
.Lfunc_end15:
	.size	_ZN4RAJA6policy3hip4impl18forallp_hip_kernelINS1_8hip_execINS_17iteration_mapping11StridedLoopILm0EEENS_3hip11IndexGlobalILNS_9named_dimE0ELi256ELi0EEENS8_40AvoidDeviceMaxThreadOccupancyConcretizerINS8_34FractionOffsetOccupancyConcretizerINS_8FractionImLm1ELm1EEELln1EEEEELb1EEENS_9Iterators16numeric_iteratorIllPlEEZN8rajaperf9algorithm10REDUCE_SUM17runHipVariantRAJAILm256ENSN_13gpu_algorithm19block_device_helperENSN_11gpu_mapping40global_loop_occupancy_grid_stride_helperEEEvNSN_9VariantIDEEUllE_lNS_4expt15ForallParamPackIJEEES7_SB_TnNSt9enable_ifIXaaaasr3std10is_base_ofINS5_15StridedLoopBaseET4_EE5valuesr3std10is_base_ofINS5_15UnsizedLoopBaseES12_EE5valuegtsrT5_10block_sizeLi0EEmE4typeELm256EEEvT1_T0_T2_T3_, .Lfunc_end15-_ZN4RAJA6policy3hip4impl18forallp_hip_kernelINS1_8hip_execINS_17iteration_mapping11StridedLoopILm0EEENS_3hip11IndexGlobalILNS_9named_dimE0ELi256ELi0EEENS8_40AvoidDeviceMaxThreadOccupancyConcretizerINS8_34FractionOffsetOccupancyConcretizerINS_8FractionImLm1ELm1EEELln1EEEEELb1EEENS_9Iterators16numeric_iteratorIllPlEEZN8rajaperf9algorithm10REDUCE_SUM17runHipVariantRAJAILm256ENSN_13gpu_algorithm19block_device_helperENSN_11gpu_mapping40global_loop_occupancy_grid_stride_helperEEEvNSN_9VariantIDEEUllE_lNS_4expt15ForallParamPackIJEEES7_SB_TnNSt9enable_ifIXaaaasr3std10is_base_ofINS5_15StridedLoopBaseET4_EE5valuesr3std10is_base_ofINS5_15UnsizedLoopBaseES12_EE5valuegtsrT5_10block_sizeLi0EEmE4typeELm256EEEvT1_T0_T2_T3_
                                        ; -- End function
	.section	.AMDGPU.csdata,"",@progbits
; Kernel info:
; codeLenInByte = 4548
; NumSgprs: 32
; NumVgprs: 20
; NumAgprs: 0
; TotalNumVgprs: 20
; ScratchSize: 0
; MemoryBound: 0
; FloatMode: 240
; IeeeMode: 1
; LDSByteSize: 129 bytes/workgroup (compile time only)
; SGPRBlocks: 3
; VGPRBlocks: 2
; NumSGPRsForWavesPerEU: 32
; NumVGPRsForWavesPerEU: 20
; AccumOffset: 20
; Occupancy: 8
; WaveLimiterHint : 0
; COMPUTE_PGM_RSRC2:SCRATCH_EN: 0
; COMPUTE_PGM_RSRC2:USER_SGPR: 6
; COMPUTE_PGM_RSRC2:TRAP_HANDLER: 0
; COMPUTE_PGM_RSRC2:TGID_X_EN: 1
; COMPUTE_PGM_RSRC2:TGID_Y_EN: 1
; COMPUTE_PGM_RSRC2:TGID_Z_EN: 1
; COMPUTE_PGM_RSRC2:TIDIG_COMP_CNT: 2
; COMPUTE_PGM_RSRC3_GFX90A:ACCUM_OFFSET: 4
; COMPUTE_PGM_RSRC3_GFX90A:TG_SPLIT: 0
	.section	.text._ZN4RAJA6policy3hip4impl18forallp_hip_kernelINS1_8hip_execINS_17iteration_mapping11StridedLoopILm0EEENS_3hip11IndexGlobalILNS_9named_dimE0ELi256ELi0EEENS8_40AvoidDeviceMaxThreadOccupancyConcretizerINS8_34FractionOffsetOccupancyConcretizerINS_8FractionImLm1ELm1EEELln1EEEEELb1EEENS_9Iterators16numeric_iteratorIllPlEEZN8rajaperf9algorithm10REDUCE_SUM26runHipVariantRAJANewReduceILm256ENSN_11gpu_mapping40global_loop_occupancy_grid_stride_helperEEEvNSN_9VariantIDEEUllRNS_4expt5ValOpIdNS_9operators4plusEEEE_lNSU_15ForallParamPackIJNSU_6detail7ReducerINSX_IdddEEdSY_EEEEES7_SB_TnNSt9enable_ifIXaaaasr3std10is_base_ofINS5_15StridedLoopBaseET4_EE5valuesr3std10is_base_ofINS5_15UnsizedLoopBaseES19_EE5valuegtsrT5_10block_sizeLi0EEmE4typeELm256EEEvT1_T0_T2_T3_,"axG",@progbits,_ZN4RAJA6policy3hip4impl18forallp_hip_kernelINS1_8hip_execINS_17iteration_mapping11StridedLoopILm0EEENS_3hip11IndexGlobalILNS_9named_dimE0ELi256ELi0EEENS8_40AvoidDeviceMaxThreadOccupancyConcretizerINS8_34FractionOffsetOccupancyConcretizerINS_8FractionImLm1ELm1EEELln1EEEEELb1EEENS_9Iterators16numeric_iteratorIllPlEEZN8rajaperf9algorithm10REDUCE_SUM26runHipVariantRAJANewReduceILm256ENSN_11gpu_mapping40global_loop_occupancy_grid_stride_helperEEEvNSN_9VariantIDEEUllRNS_4expt5ValOpIdNS_9operators4plusEEEE_lNSU_15ForallParamPackIJNSU_6detail7ReducerINSX_IdddEEdSY_EEEEES7_SB_TnNSt9enable_ifIXaaaasr3std10is_base_ofINS5_15StridedLoopBaseET4_EE5valuesr3std10is_base_ofINS5_15UnsizedLoopBaseES19_EE5valuegtsrT5_10block_sizeLi0EEmE4typeELm256EEEvT1_T0_T2_T3_,comdat
	.protected	_ZN4RAJA6policy3hip4impl18forallp_hip_kernelINS1_8hip_execINS_17iteration_mapping11StridedLoopILm0EEENS_3hip11IndexGlobalILNS_9named_dimE0ELi256ELi0EEENS8_40AvoidDeviceMaxThreadOccupancyConcretizerINS8_34FractionOffsetOccupancyConcretizerINS_8FractionImLm1ELm1EEELln1EEEEELb1EEENS_9Iterators16numeric_iteratorIllPlEEZN8rajaperf9algorithm10REDUCE_SUM26runHipVariantRAJANewReduceILm256ENSN_11gpu_mapping40global_loop_occupancy_grid_stride_helperEEEvNSN_9VariantIDEEUllRNS_4expt5ValOpIdNS_9operators4plusEEEE_lNSU_15ForallParamPackIJNSU_6detail7ReducerINSX_IdddEEdSY_EEEEES7_SB_TnNSt9enable_ifIXaaaasr3std10is_base_ofINS5_15StridedLoopBaseET4_EE5valuesr3std10is_base_ofINS5_15UnsizedLoopBaseES19_EE5valuegtsrT5_10block_sizeLi0EEmE4typeELm256EEEvT1_T0_T2_T3_ ; -- Begin function _ZN4RAJA6policy3hip4impl18forallp_hip_kernelINS1_8hip_execINS_17iteration_mapping11StridedLoopILm0EEENS_3hip11IndexGlobalILNS_9named_dimE0ELi256ELi0EEENS8_40AvoidDeviceMaxThreadOccupancyConcretizerINS8_34FractionOffsetOccupancyConcretizerINS_8FractionImLm1ELm1EEELln1EEEEELb1EEENS_9Iterators16numeric_iteratorIllPlEEZN8rajaperf9algorithm10REDUCE_SUM26runHipVariantRAJANewReduceILm256ENSN_11gpu_mapping40global_loop_occupancy_grid_stride_helperEEEvNSN_9VariantIDEEUllRNS_4expt5ValOpIdNS_9operators4plusEEEE_lNSU_15ForallParamPackIJNSU_6detail7ReducerINSX_IdddEEdSY_EEEEES7_SB_TnNSt9enable_ifIXaaaasr3std10is_base_ofINS5_15StridedLoopBaseET4_EE5valuesr3std10is_base_ofINS5_15UnsizedLoopBaseES19_EE5valuegtsrT5_10block_sizeLi0EEmE4typeELm256EEEvT1_T0_T2_T3_
	.globl	_ZN4RAJA6policy3hip4impl18forallp_hip_kernelINS1_8hip_execINS_17iteration_mapping11StridedLoopILm0EEENS_3hip11IndexGlobalILNS_9named_dimE0ELi256ELi0EEENS8_40AvoidDeviceMaxThreadOccupancyConcretizerINS8_34FractionOffsetOccupancyConcretizerINS_8FractionImLm1ELm1EEELln1EEEEELb1EEENS_9Iterators16numeric_iteratorIllPlEEZN8rajaperf9algorithm10REDUCE_SUM26runHipVariantRAJANewReduceILm256ENSN_11gpu_mapping40global_loop_occupancy_grid_stride_helperEEEvNSN_9VariantIDEEUllRNS_4expt5ValOpIdNS_9operators4plusEEEE_lNSU_15ForallParamPackIJNSU_6detail7ReducerINSX_IdddEEdSY_EEEEES7_SB_TnNSt9enable_ifIXaaaasr3std10is_base_ofINS5_15StridedLoopBaseET4_EE5valuesr3std10is_base_ofINS5_15UnsizedLoopBaseES19_EE5valuegtsrT5_10block_sizeLi0EEmE4typeELm256EEEvT1_T0_T2_T3_
	.p2align	8
	.type	_ZN4RAJA6policy3hip4impl18forallp_hip_kernelINS1_8hip_execINS_17iteration_mapping11StridedLoopILm0EEENS_3hip11IndexGlobalILNS_9named_dimE0ELi256ELi0EEENS8_40AvoidDeviceMaxThreadOccupancyConcretizerINS8_34FractionOffsetOccupancyConcretizerINS_8FractionImLm1ELm1EEELln1EEEEELb1EEENS_9Iterators16numeric_iteratorIllPlEEZN8rajaperf9algorithm10REDUCE_SUM26runHipVariantRAJANewReduceILm256ENSN_11gpu_mapping40global_loop_occupancy_grid_stride_helperEEEvNSN_9VariantIDEEUllRNS_4expt5ValOpIdNS_9operators4plusEEEE_lNSU_15ForallParamPackIJNSU_6detail7ReducerINSX_IdddEEdSY_EEEEES7_SB_TnNSt9enable_ifIXaaaasr3std10is_base_ofINS5_15StridedLoopBaseET4_EE5valuesr3std10is_base_ofINS5_15UnsizedLoopBaseES19_EE5valuegtsrT5_10block_sizeLi0EEmE4typeELm256EEEvT1_T0_T2_T3_,@function
_ZN4RAJA6policy3hip4impl18forallp_hip_kernelINS1_8hip_execINS_17iteration_mapping11StridedLoopILm0EEENS_3hip11IndexGlobalILNS_9named_dimE0ELi256ELi0EEENS8_40AvoidDeviceMaxThreadOccupancyConcretizerINS8_34FractionOffsetOccupancyConcretizerINS_8FractionImLm1ELm1EEELln1EEEEELb1EEENS_9Iterators16numeric_iteratorIllPlEEZN8rajaperf9algorithm10REDUCE_SUM26runHipVariantRAJANewReduceILm256ENSN_11gpu_mapping40global_loop_occupancy_grid_stride_helperEEEvNSN_9VariantIDEEUllRNS_4expt5ValOpIdNS_9operators4plusEEEE_lNSU_15ForallParamPackIJNSU_6detail7ReducerINSX_IdddEEdSY_EEEEES7_SB_TnNSt9enable_ifIXaaaasr3std10is_base_ofINS5_15StridedLoopBaseET4_EE5valuesr3std10is_base_ofINS5_15UnsizedLoopBaseES19_EE5valuegtsrT5_10block_sizeLi0EEmE4typeELm256EEEvT1_T0_T2_T3_: ; @_ZN4RAJA6policy3hip4impl18forallp_hip_kernelINS1_8hip_execINS_17iteration_mapping11StridedLoopILm0EEENS_3hip11IndexGlobalILNS_9named_dimE0ELi256ELi0EEENS8_40AvoidDeviceMaxThreadOccupancyConcretizerINS8_34FractionOffsetOccupancyConcretizerINS_8FractionImLm1ELm1EEELln1EEEEELb1EEENS_9Iterators16numeric_iteratorIllPlEEZN8rajaperf9algorithm10REDUCE_SUM26runHipVariantRAJANewReduceILm256ENSN_11gpu_mapping40global_loop_occupancy_grid_stride_helperEEEvNSN_9VariantIDEEUllRNS_4expt5ValOpIdNS_9operators4plusEEEE_lNSU_15ForallParamPackIJNSU_6detail7ReducerINSX_IdddEEdSY_EEEEES7_SB_TnNSt9enable_ifIXaaaasr3std10is_base_ofINS5_15StridedLoopBaseET4_EE5valuesr3std10is_base_ofINS5_15UnsizedLoopBaseES19_EE5valuegtsrT5_10block_sizeLi0EEmE4typeELm256EEEvT1_T0_T2_T3_
; %bb.0:
	s_load_dwordx8 s[8:15], s[4:5], 0x0
	s_load_dwordx4 s[16:19], s[4:5], 0x28
	s_load_dwordx2 s[22:23], s[4:5], 0x38
	s_load_dword s20, s[4:5], 0x40
	s_mov_b32 s7, 0
	v_and_b32_e32 v2, 0x3ff, v0
	s_lshl_b64 s[0:1], s[6:7], 8
	v_or_b32_e32 v4, s0, v2
	v_mov_b32_e32 v5, s1
	s_add_u32 s24, s4, 64
	s_waitcnt lgkmcnt(0)
	v_cmp_gt_i64_e32 vcc, s[12:13], v[4:5]
	s_addc_u32 s25, s5, 0
	v_pk_mov_b32 v[6:7], s[14:15], s[14:15] op_sel:[0,1]
	s_and_saveexec_b64 s[0:1], vcc
	s_cbranch_execz .LBB16_4
; %bb.1:
	s_mov_b32 s21, s7
	s_lshl_b64 s[2:3], s[20:21], 8
	s_lshl_b64 s[4:5], s[6:7], 11
	;; [unrolled: 1-line block ×3, first 2 shown]
	s_add_u32 s4, s4, s10
	s_addc_u32 s5, s5, s11
	s_add_u32 s4, s8, s4
	v_lshlrev_b32_e32 v1, 3, v2
	s_addc_u32 s5, s9, s5
	v_mov_b32_e32 v3, s5
	v_add_co_u32_e32 v8, vcc, s4, v1
	s_lshl_b64 s[8:9], s[20:21], 11
	v_addc_co_u32_e32 v9, vcc, 0, v3, vcc
	s_mov_b64 s[4:5], 0
	v_pk_mov_b32 v[6:7], s[14:15], s[14:15] op_sel:[0,1]
	v_mov_b32_e32 v1, s9
	v_mov_b32_e32 v3, s3
.LBB16_2:                               ; =>This Inner Loop Header: Depth=1
	global_load_dwordx2 v[10:11], v[8:9], off
	v_add_co_u32_e32 v8, vcc, s8, v8
	v_addc_co_u32_e32 v9, vcc, v9, v1, vcc
	v_add_co_u32_e32 v4, vcc, s2, v4
	v_addc_co_u32_e32 v5, vcc, v5, v3, vcc
	v_cmp_le_i64_e32 vcc, s[12:13], v[4:5]
	s_or_b64 s[4:5], vcc, s[4:5]
	s_waitcnt vmcnt(0)
	v_add_f64 v[6:7], v[6:7], v[10:11]
	s_andn2_b64 exec, exec, s[4:5]
	s_cbranch_execnz .LBB16_2
; %bb.3:
	s_or_b64 exec, exec, s[4:5]
.LBB16_4:
	s_or_b64 exec, exec, s[0:1]
	v_mbcnt_lo_u32_b32 v1, -1, 0
	v_mbcnt_hi_u32_b32 v12, -1, v1
	v_and_b32_e32 v1, 64, v12
	v_add_u32_e32 v1, 64, v1
	v_xor_b32_e32 v3, 1, v12
	v_cmp_lt_i32_e32 vcc, v3, v1
	v_cndmask_b32_e32 v3, v12, v3, vcc
	v_lshlrev_b32_e32 v3, 2, v3
	ds_bpermute_b32 v4, v3, v7
	ds_bpermute_b32 v8, v3, v6
	s_waitcnt lgkmcnt(1)
	v_and_b32_e32 v5, 0xff00, v4
	v_and_b32_e32 v9, 0xff0000, v4
	v_or_b32_sdwa v5, v4, v5 dst_sel:DWORD dst_unused:UNUSED_PAD src0_sel:BYTE_0 src1_sel:DWORD
	v_and_b32_e32 v4, 0xff000000, v4
	v_or3_b32 v5, v5, v9, v4
	s_waitcnt lgkmcnt(0)
	v_or3_b32 v4, v8, 0, 0
	v_add_f64 v[4:5], v[6:7], v[4:5]
	v_xor_b32_e32 v6, 2, v12
	v_cmp_lt_i32_e32 vcc, v6, v1
	v_cndmask_b32_e32 v6, v12, v6, vcc
	v_lshlrev_b32_e32 v6, 2, v6
	ds_bpermute_b32 v7, v6, v5
	ds_bpermute_b32 v8, v6, v4
	s_waitcnt lgkmcnt(1)
	v_and_b32_e32 v9, 0xff00, v7
	v_and_b32_e32 v10, 0xff0000, v7
	v_or_b32_sdwa v9, v7, v9 dst_sel:DWORD dst_unused:UNUSED_PAD src0_sel:BYTE_0 src1_sel:DWORD
	v_and_b32_e32 v7, 0xff000000, v7
	v_or3_b32 v9, v9, v10, v7
	v_xor_b32_e32 v7, 4, v12
	v_cmp_lt_i32_e32 vcc, v7, v1
	s_waitcnt lgkmcnt(0)
	v_or3_b32 v8, v8, 0, 0
	v_cndmask_b32_e32 v7, v12, v7, vcc
	v_add_f64 v[4:5], v[4:5], v[8:9]
	v_lshlrev_b32_e32 v7, 2, v7
	ds_bpermute_b32 v8, v7, v5
	ds_bpermute_b32 v10, v7, v4
	s_waitcnt lgkmcnt(1)
	v_and_b32_e32 v9, 0xff00, v8
	v_and_b32_e32 v11, 0xff0000, v8
	v_or_b32_sdwa v9, v8, v9 dst_sel:DWORD dst_unused:UNUSED_PAD src0_sel:BYTE_0 src1_sel:DWORD
	v_and_b32_e32 v8, 0xff000000, v8
	v_or3_b32 v9, v9, v11, v8
	s_waitcnt lgkmcnt(0)
	v_or3_b32 v8, v10, 0, 0
	v_add_f64 v[4:5], v[4:5], v[8:9]
	v_xor_b32_e32 v8, 8, v12
	v_cmp_lt_i32_e32 vcc, v8, v1
	v_cndmask_b32_e32 v8, v12, v8, vcc
	v_lshlrev_b32_e32 v8, 2, v8
	ds_bpermute_b32 v9, v8, v5
	ds_bpermute_b32 v10, v8, v4
	s_waitcnt lgkmcnt(1)
	v_and_b32_e32 v11, 0xff00, v9
	v_and_b32_e32 v13, 0xff0000, v9
	v_or_b32_sdwa v11, v9, v11 dst_sel:DWORD dst_unused:UNUSED_PAD src0_sel:BYTE_0 src1_sel:DWORD
	v_and_b32_e32 v9, 0xff000000, v9
	v_or3_b32 v11, v11, v13, v9
	v_xor_b32_e32 v9, 16, v12
	v_cmp_lt_i32_e32 vcc, v9, v1
	s_waitcnt lgkmcnt(0)
	v_or3_b32 v10, v10, 0, 0
	v_cndmask_b32_e32 v9, v12, v9, vcc
	v_add_f64 v[4:5], v[4:5], v[10:11]
	v_lshlrev_b32_e32 v10, 2, v9
	ds_bpermute_b32 v9, v10, v5
	ds_bpermute_b32 v11, v10, v4
	s_waitcnt lgkmcnt(1)
	v_and_b32_e32 v13, 0xff00, v9
	v_and_b32_e32 v14, 0xff0000, v9
	v_or_b32_sdwa v13, v9, v13 dst_sel:DWORD dst_unused:UNUSED_PAD src0_sel:BYTE_0 src1_sel:DWORD
	v_and_b32_e32 v9, 0xff000000, v9
	v_or3_b32 v15, v13, v14, v9
	v_xor_b32_e32 v9, 32, v12
	v_cmp_lt_i32_e32 vcc, v9, v1
	s_waitcnt lgkmcnt(0)
	v_or3_b32 v14, v11, 0, 0
	v_cndmask_b32_e32 v1, v12, v9, vcc
	v_add_f64 v[4:5], v[4:5], v[14:15]
	v_lshlrev_b32_e32 v11, 2, v1
	ds_bpermute_b32 v1, v11, v5
	ds_bpermute_b32 v13, v11, v4
	v_and_b32_e32 v9, 63, v2
	v_cmp_eq_u32_e64 s[0:1], 0, v9
	s_waitcnt lgkmcnt(1)
	v_and_b32_e32 v14, 0xff00, v1
	v_and_b32_e32 v15, 0xff0000, v1
	v_or_b32_sdwa v14, v1, v14 dst_sel:DWORD dst_unused:UNUSED_PAD src0_sel:BYTE_0 src1_sel:DWORD
	v_and_b32_e32 v1, 0xff000000, v1
	v_or3_b32 v15, v14, v15, v1
	s_waitcnt lgkmcnt(0)
	v_or3_b32 v14, v13, 0, 0
	v_add_f64 v[4:5], v[4:5], v[14:15]
	s_and_saveexec_b64 s[2:3], s[0:1]
	s_cbranch_execz .LBB16_6
; %bb.5:
	v_lshrrev_b32_e32 v1, 3, v2
	ds_write_b64 v1, v[4:5] offset:256
.LBB16_6:
	s_or_b64 exec, exec, s[2:3]
	v_cmp_gt_u32_e64 s[2:3], 64, v2
	s_waitcnt lgkmcnt(0)
	s_barrier
	s_and_saveexec_b64 s[4:5], s[2:3]
	s_cbranch_execz .LBB16_10
; %bb.7:
	v_cmp_gt_u32_e32 vcc, 4, v9
	v_pk_mov_b32 v[4:5], 0, 0
	s_and_saveexec_b64 s[8:9], vcc
	s_cbranch_execz .LBB16_9
; %bb.8:
	v_lshlrev_b32_e32 v1, 3, v9
	ds_read_b64 v[4:5], v1 offset:256
.LBB16_9:
	s_or_b64 exec, exec, s[8:9]
	s_waitcnt lgkmcnt(0)
	ds_bpermute_b32 v1, v3, v5
	ds_bpermute_b32 v13, v3, v4
	s_waitcnt lgkmcnt(1)
	v_and_b32_e32 v15, 0xff00, v1
	v_and_b32_e32 v16, 0xff0000, v1
	v_and_b32_e32 v17, 0xff000000, v1
	v_or_b32_sdwa v1, v1, v15 dst_sel:DWORD dst_unused:UNUSED_PAD src0_sel:BYTE_0 src1_sel:DWORD
	s_waitcnt lgkmcnt(0)
	v_or3_b32 v14, v13, 0, 0
	v_or3_b32 v15, v1, v16, v17
	v_add_f64 v[4:5], v[4:5], v[14:15]
	ds_bpermute_b32 v1, v6, v5
	ds_bpermute_b32 v13, v6, v4
	s_waitcnt lgkmcnt(1)
	v_and_b32_e32 v15, 0xff00, v1
	v_and_b32_e32 v16, 0xff0000, v1
	v_and_b32_e32 v17, 0xff000000, v1
	v_or_b32_sdwa v1, v1, v15 dst_sel:DWORD dst_unused:UNUSED_PAD src0_sel:BYTE_0 src1_sel:DWORD
	s_waitcnt lgkmcnt(0)
	v_or3_b32 v14, v13, 0, 0
	v_or3_b32 v15, v1, v16, v17
	v_add_f64 v[4:5], v[4:5], v[14:15]
	;; [unrolled: 11-line block ×3, first 2 shown]
	ds_bpermute_b32 v1, v8, v5
	ds_bpermute_b32 v13, v8, v4
	s_waitcnt lgkmcnt(1)
	v_and_b32_e32 v14, 0xff00, v1
	v_and_b32_e32 v15, 0xff0000, v1
	;; [unrolled: 1-line block ×3, first 2 shown]
	v_or_b32_sdwa v1, v1, v14 dst_sel:DWORD dst_unused:UNUSED_PAD src0_sel:BYTE_0 src1_sel:DWORD
	v_or3_b32 v15, v1, v15, v16
	s_waitcnt lgkmcnt(0)
	v_or3_b32 v14, v13, 0, 0
	v_add_f64 v[4:5], v[4:5], v[14:15]
.LBB16_10:
	s_or_b64 exec, exec, s[4:5]
	v_cmp_eq_u32_e64 s[4:5], 0, v2
	v_mov_b32_e32 v1, 0
	v_mov_b32_e32 v13, 0
	s_barrier
	s_and_saveexec_b64 s[8:9], s[4:5]
	s_cbranch_execz .LBB16_12
; %bb.11:
	s_bfe_i64 s[10:11], s[6:7], 0x200000
	s_add_i32 s12, s20, -1
	s_lshl_b64 s[10:11], s[10:11], 3
	s_add_u32 s10, s18, s10
	v_mov_b32_e32 v13, 0
	s_addc_u32 s11, s19, s11
	global_store_dwordx2 v13, v[4:5], s[10:11]
	v_mov_b32_e32 v4, s12
	s_waitcnt vmcnt(0)
	buffer_wbinvl1_vol
	global_atomic_inc v4, v13, v4, s[22:23] glc
	s_waitcnt vmcnt(0)
	v_cmp_eq_u32_e32 vcc, s12, v4
	v_cndmask_b32_e64 v13, 0, 1, vcc
.LBB16_12:
	s_or_b64 exec, exec, s[8:9]
	global_load_dword v4, v1, s[24:25] offset:14
	s_waitcnt vmcnt(0)
	v_readfirstlane_b32 s7, v4
	s_lshr_b32 s10, s7, 16
	s_and_b32 s7, s7, 0xffff
	s_cmp_lt_u32 s6, s20
	s_cselect_b32 s6, 12, 18
	s_add_u32 s8, s24, s6
	s_addc_u32 s9, s25, 0
	global_load_ushort v1, v1, s[8:9]
	v_or_b32_dpp v4, v13, v13 row_shl:1 row_mask:0xf bank_mask:0xf bound_ctrl:1
	s_waitcnt vmcnt(0)
	v_readfirstlane_b32 s9, v1
	v_or_b32_dpp v4, v4, v4 row_shl:2 row_mask:0xf bank_mask:0xf bound_ctrl:1
	s_mul_i32 s9, s7, s9
	s_bfe_i32 s9, s9, 0x180000
	v_or_b32_dpp v4, v4, v4 row_shl:4 row_mask:0xf bank_mask:0xf bound_ctrl:1
	s_mul_i32 s9, s9, s10
	s_add_i32 s9, s9, 63
	v_or_b32_dpp v4, v4, v4 row_shl:8 row_mask:0xf bank_mask:0xf bound_ctrl:1
	s_bitcmp1_b32 exec_hi, 0
	s_nop 0
	v_mov_b32_dpp v5, v4 wave_shl:1 row_mask:0xf bank_mask:0xf bound_ctrl:1
	s_nop 1
	v_or_b32_dpp v4, v5, v4 row_mirror row_mask:0xf bank_mask:0xf bound_ctrl:1
	v_readlane_b32 s6, v4, 32
	v_readlane_b32 s8, v4, 0
	s_cselect_b32 s6, s6, 0
	s_or_b32 s8, s6, s8
	s_andn2_b32 s9, s9, 63
	s_cmp_eq_u32 s9, 64
	v_mov_b32_e32 v4, s8
	s_cbranch_scc1 .LBB16_19
; %bb.13:
	v_bfe_u32 v4, v0, 10, 10
	v_bfe_u32 v0, v0, 20, 10
	v_mad_u32_u24 v0, v0, s7, v4
	v_mad_u64_u32 v[0:1], s[6:7], v0, v1, v[2:3]
	v_lshrrev_b32_e32 v1, 6, v0
	v_or_b32_e32 v1, v1, v12
	v_cmp_eq_u32_e32 vcc, 0, v1
	s_and_saveexec_b64 s[6:7], vcc
	s_cbranch_execz .LBB16_15
; %bb.14:
	v_mov_b32_e32 v1, 0
	v_mov_b32_e32 v4, s8
	ds_write_b32 v1, v4
.LBB16_15:
	s_or_b64 exec, exec, s[6:7]
	v_cmp_eq_u32_e32 vcc, 0, v12
	v_cmp_lt_u32_e64 s[6:7], 63, v0
	s_and_b64 s[10:11], vcc, s[6:7]
	s_waitcnt lgkmcnt(0)
	s_barrier
	s_and_saveexec_b64 s[6:7], s[10:11]
	s_cbranch_execz .LBB16_18
; %bb.16:
	v_mbcnt_lo_u32_b32 v0, exec_lo, 0
	v_mbcnt_hi_u32_b32 v0, exec_hi, v0
	v_cmp_eq_u32_e32 vcc, 0, v0
	s_and_b64 exec, exec, vcc
	s_cbranch_execz .LBB16_18
; %bb.17:
	v_mov_b32_e32 v0, 0
	v_mov_b32_e32 v1, s8
	ds_or_b32 v0, v1
.LBB16_18:
	s_or_b64 exec, exec, s[6:7]
	v_mov_b32_e32 v0, 0
	s_waitcnt lgkmcnt(0)
	s_barrier
	ds_read_b32 v4, v0
	s_waitcnt lgkmcnt(0)
	s_barrier
.LBB16_19:
	v_cmp_eq_u32_e32 vcc, 0, v4
	s_cbranch_vccnz .LBB16_32
; %bb.20:
	v_cmp_gt_i32_e32 vcc, s20, v2
	v_pk_mov_b32 v[0:1], 0, 0
	buffer_wbinvl1_vol
	s_and_saveexec_b64 s[6:7], vcc
	s_cbranch_execz .LBB16_24
; %bb.21:
	v_lshlrev_b32_e32 v0, 3, v2
	v_mov_b32_e32 v1, s19
	v_add_co_u32_e32 v4, vcc, s18, v0
	v_addc_co_u32_e32 v5, vcc, 0, v1, vcc
	s_mov_b64 s[8:9], 0
	v_pk_mov_b32 v[0:1], 0, 0
	v_mov_b32_e32 v12, v2
.LBB16_22:                              ; =>This Inner Loop Header: Depth=1
	global_load_dwordx2 v[14:15], v[4:5], off
	v_add_co_u32_e32 v4, vcc, 0x800, v4
	v_add_u32_e32 v12, 0x100, v12
	v_addc_co_u32_e32 v5, vcc, 0, v5, vcc
	v_cmp_le_i32_e32 vcc, s20, v12
	s_or_b64 s[8:9], vcc, s[8:9]
	s_waitcnt vmcnt(0)
	v_add_f64 v[0:1], v[0:1], v[14:15]
	s_andn2_b64 exec, exec, s[8:9]
	s_cbranch_execnz .LBB16_22
; %bb.23:
	s_or_b64 exec, exec, s[8:9]
.LBB16_24:
	s_or_b64 exec, exec, s[6:7]
	ds_bpermute_b32 v5, v3, v1
	ds_bpermute_b32 v4, v3, v0
	s_waitcnt lgkmcnt(1)
	v_and_b32_e32 v12, 0xff00, v5
	v_and_b32_e32 v13, 0xff0000, v5
	v_and_b32_e32 v14, 0xff000000, v5
	v_or_b32_sdwa v5, v5, v12 dst_sel:DWORD dst_unused:UNUSED_PAD src0_sel:BYTE_0 src1_sel:DWORD
	s_waitcnt lgkmcnt(0)
	v_or3_b32 v4, v4, 0, 0
	v_or3_b32 v5, v5, v13, v14
	v_add_f64 v[0:1], v[0:1], v[4:5]
	ds_bpermute_b32 v5, v6, v1
	ds_bpermute_b32 v4, v6, v0
	s_waitcnt lgkmcnt(1)
	v_and_b32_e32 v12, 0xff00, v5
	v_and_b32_e32 v13, 0xff0000, v5
	v_and_b32_e32 v14, 0xff000000, v5
	v_or_b32_sdwa v5, v5, v12 dst_sel:DWORD dst_unused:UNUSED_PAD src0_sel:BYTE_0 src1_sel:DWORD
	s_waitcnt lgkmcnt(0)
	v_or3_b32 v4, v4, 0, 0
	v_or3_b32 v5, v5, v13, v14
	v_add_f64 v[0:1], v[0:1], v[4:5]
	;; [unrolled: 11-line block ×5, first 2 shown]
	ds_bpermute_b32 v4, v11, v1
	ds_bpermute_b32 v10, v11, v0
	s_waitcnt lgkmcnt(1)
	v_and_b32_e32 v5, 0xff00, v4
	v_and_b32_e32 v11, 0xff0000, v4
	;; [unrolled: 1-line block ×3, first 2 shown]
	v_or_b32_sdwa v4, v4, v5 dst_sel:DWORD dst_unused:UNUSED_PAD src0_sel:BYTE_0 src1_sel:DWORD
	v_or3_b32 v5, v4, v11, v12
	s_waitcnt lgkmcnt(0)
	v_or3_b32 v4, v10, 0, 0
	v_add_f64 v[0:1], v[0:1], v[4:5]
	s_and_saveexec_b64 s[6:7], s[0:1]
	s_cbranch_execz .LBB16_26
; %bb.25:
	v_lshrrev_b32_e32 v2, 3, v2
	ds_write_b64 v2, v[0:1] offset:256
.LBB16_26:
	s_or_b64 exec, exec, s[6:7]
	s_waitcnt lgkmcnt(0)
	s_barrier
	s_and_saveexec_b64 s[0:1], s[2:3]
	s_cbranch_execz .LBB16_30
; %bb.27:
	v_cmp_gt_u32_e32 vcc, 4, v9
	v_pk_mov_b32 v[0:1], 0, 0
	s_and_saveexec_b64 s[2:3], vcc
	s_cbranch_execz .LBB16_29
; %bb.28:
	v_lshlrev_b32_e32 v0, 3, v9
	ds_read_b64 v[0:1], v0 offset:256
.LBB16_29:
	s_or_b64 exec, exec, s[2:3]
	s_waitcnt lgkmcnt(0)
	ds_bpermute_b32 v4, v3, v1
	ds_bpermute_b32 v2, v3, v0
	s_waitcnt lgkmcnt(1)
	v_and_b32_e32 v3, 0xff00, v4
	v_and_b32_e32 v5, 0xff0000, v4
	v_and_b32_e32 v9, 0xff000000, v4
	v_or_b32_sdwa v3, v4, v3 dst_sel:DWORD dst_unused:UNUSED_PAD src0_sel:BYTE_0 src1_sel:DWORD
	s_waitcnt lgkmcnt(0)
	v_or3_b32 v2, v2, 0, 0
	v_or3_b32 v3, v3, v5, v9
	v_add_f64 v[0:1], v[0:1], v[2:3]
	ds_bpermute_b32 v3, v6, v1
	ds_bpermute_b32 v2, v6, v0
	s_waitcnt lgkmcnt(1)
	v_and_b32_e32 v4, 0xff00, v3
	v_and_b32_e32 v5, 0xff0000, v3
	v_and_b32_e32 v6, 0xff000000, v3
	v_or_b32_sdwa v3, v3, v4 dst_sel:DWORD dst_unused:UNUSED_PAD src0_sel:BYTE_0 src1_sel:DWORD
	s_waitcnt lgkmcnt(0)
	v_or3_b32 v2, v2, 0, 0
	v_or3_b32 v3, v3, v5, v6
	v_add_f64 v[0:1], v[0:1], v[2:3]
	ds_bpermute_b32 v3, v7, v1
	ds_bpermute_b32 v2, v7, v0
	s_waitcnt lgkmcnt(1)
	v_and_b32_e32 v4, 0xff00, v3
	v_and_b32_e32 v5, 0xff0000, v3
	v_and_b32_e32 v6, 0xff000000, v3
	v_or_b32_sdwa v3, v3, v4 dst_sel:DWORD dst_unused:UNUSED_PAD src0_sel:BYTE_0 src1_sel:DWORD
	s_waitcnt lgkmcnt(0)
	v_or3_b32 v2, v2, 0, 0
	v_or3_b32 v3, v3, v5, v6
	v_add_f64 v[0:1], v[0:1], v[2:3]
	ds_bpermute_b32 v2, v8, v1
	ds_bpermute_b32 v4, v8, v0
	s_waitcnt lgkmcnt(1)
	v_and_b32_e32 v3, 0xff00, v2
	v_and_b32_e32 v5, 0xff0000, v2
	;; [unrolled: 1-line block ×3, first 2 shown]
	v_or_b32_sdwa v2, v2, v3 dst_sel:DWORD dst_unused:UNUSED_PAD src0_sel:BYTE_0 src1_sel:DWORD
	v_or3_b32 v3, v2, v5, v6
	s_waitcnt lgkmcnt(0)
	v_or3_b32 v2, v4, 0, 0
	v_add_f64 v[0:1], v[0:1], v[2:3]
.LBB16_30:
	s_or_b64 exec, exec, s[0:1]
	s_barrier
	s_and_saveexec_b64 s[0:1], s[4:5]
	s_cbranch_execz .LBB16_32
; %bb.31:
	v_mov_b32_e32 v2, 0
	global_store_dwordx2 v2, v[0:1], s[16:17]
.LBB16_32:
	s_endpgm
	.section	.rodata,"a",@progbits
	.p2align	6, 0x0
	.amdhsa_kernel _ZN4RAJA6policy3hip4impl18forallp_hip_kernelINS1_8hip_execINS_17iteration_mapping11StridedLoopILm0EEENS_3hip11IndexGlobalILNS_9named_dimE0ELi256ELi0EEENS8_40AvoidDeviceMaxThreadOccupancyConcretizerINS8_34FractionOffsetOccupancyConcretizerINS_8FractionImLm1ELm1EEELln1EEEEELb1EEENS_9Iterators16numeric_iteratorIllPlEEZN8rajaperf9algorithm10REDUCE_SUM26runHipVariantRAJANewReduceILm256ENSN_11gpu_mapping40global_loop_occupancy_grid_stride_helperEEEvNSN_9VariantIDEEUllRNS_4expt5ValOpIdNS_9operators4plusEEEE_lNSU_15ForallParamPackIJNSU_6detail7ReducerINSX_IdddEEdSY_EEEEES7_SB_TnNSt9enable_ifIXaaaasr3std10is_base_ofINS5_15StridedLoopBaseET4_EE5valuesr3std10is_base_ofINS5_15UnsizedLoopBaseES19_EE5valuegtsrT5_10block_sizeLi0EEmE4typeELm256EEEvT1_T0_T2_T3_
		.amdhsa_group_segment_fixed_size 384
		.amdhsa_private_segment_fixed_size 0
		.amdhsa_kernarg_size 320
		.amdhsa_user_sgpr_count 6
		.amdhsa_user_sgpr_private_segment_buffer 1
		.amdhsa_user_sgpr_dispatch_ptr 0
		.amdhsa_user_sgpr_queue_ptr 0
		.amdhsa_user_sgpr_kernarg_segment_ptr 1
		.amdhsa_user_sgpr_dispatch_id 0
		.amdhsa_user_sgpr_flat_scratch_init 0
		.amdhsa_user_sgpr_kernarg_preload_length 0
		.amdhsa_user_sgpr_kernarg_preload_offset 0
		.amdhsa_user_sgpr_private_segment_size 0
		.amdhsa_uses_dynamic_stack 0
		.amdhsa_system_sgpr_private_segment_wavefront_offset 0
		.amdhsa_system_sgpr_workgroup_id_x 1
		.amdhsa_system_sgpr_workgroup_id_y 0
		.amdhsa_system_sgpr_workgroup_id_z 0
		.amdhsa_system_sgpr_workgroup_info 0
		.amdhsa_system_vgpr_workitem_id 2
		.amdhsa_next_free_vgpr 18
		.amdhsa_next_free_sgpr 26
		.amdhsa_accum_offset 20
		.amdhsa_reserve_vcc 1
		.amdhsa_reserve_flat_scratch 0
		.amdhsa_float_round_mode_32 0
		.amdhsa_float_round_mode_16_64 0
		.amdhsa_float_denorm_mode_32 3
		.amdhsa_float_denorm_mode_16_64 3
		.amdhsa_dx10_clamp 1
		.amdhsa_ieee_mode 1
		.amdhsa_fp16_overflow 0
		.amdhsa_tg_split 0
		.amdhsa_exception_fp_ieee_invalid_op 0
		.amdhsa_exception_fp_denorm_src 0
		.amdhsa_exception_fp_ieee_div_zero 0
		.amdhsa_exception_fp_ieee_overflow 0
		.amdhsa_exception_fp_ieee_underflow 0
		.amdhsa_exception_fp_ieee_inexact 0
		.amdhsa_exception_int_div_zero 0
	.end_amdhsa_kernel
	.section	.text._ZN4RAJA6policy3hip4impl18forallp_hip_kernelINS1_8hip_execINS_17iteration_mapping11StridedLoopILm0EEENS_3hip11IndexGlobalILNS_9named_dimE0ELi256ELi0EEENS8_40AvoidDeviceMaxThreadOccupancyConcretizerINS8_34FractionOffsetOccupancyConcretizerINS_8FractionImLm1ELm1EEELln1EEEEELb1EEENS_9Iterators16numeric_iteratorIllPlEEZN8rajaperf9algorithm10REDUCE_SUM26runHipVariantRAJANewReduceILm256ENSN_11gpu_mapping40global_loop_occupancy_grid_stride_helperEEEvNSN_9VariantIDEEUllRNS_4expt5ValOpIdNS_9operators4plusEEEE_lNSU_15ForallParamPackIJNSU_6detail7ReducerINSX_IdddEEdSY_EEEEES7_SB_TnNSt9enable_ifIXaaaasr3std10is_base_ofINS5_15StridedLoopBaseET4_EE5valuesr3std10is_base_ofINS5_15UnsizedLoopBaseES19_EE5valuegtsrT5_10block_sizeLi0EEmE4typeELm256EEEvT1_T0_T2_T3_,"axG",@progbits,_ZN4RAJA6policy3hip4impl18forallp_hip_kernelINS1_8hip_execINS_17iteration_mapping11StridedLoopILm0EEENS_3hip11IndexGlobalILNS_9named_dimE0ELi256ELi0EEENS8_40AvoidDeviceMaxThreadOccupancyConcretizerINS8_34FractionOffsetOccupancyConcretizerINS_8FractionImLm1ELm1EEELln1EEEEELb1EEENS_9Iterators16numeric_iteratorIllPlEEZN8rajaperf9algorithm10REDUCE_SUM26runHipVariantRAJANewReduceILm256ENSN_11gpu_mapping40global_loop_occupancy_grid_stride_helperEEEvNSN_9VariantIDEEUllRNS_4expt5ValOpIdNS_9operators4plusEEEE_lNSU_15ForallParamPackIJNSU_6detail7ReducerINSX_IdddEEdSY_EEEEES7_SB_TnNSt9enable_ifIXaaaasr3std10is_base_ofINS5_15StridedLoopBaseET4_EE5valuesr3std10is_base_ofINS5_15UnsizedLoopBaseES19_EE5valuegtsrT5_10block_sizeLi0EEmE4typeELm256EEEvT1_T0_T2_T3_,comdat
.Lfunc_end16:
	.size	_ZN4RAJA6policy3hip4impl18forallp_hip_kernelINS1_8hip_execINS_17iteration_mapping11StridedLoopILm0EEENS_3hip11IndexGlobalILNS_9named_dimE0ELi256ELi0EEENS8_40AvoidDeviceMaxThreadOccupancyConcretizerINS8_34FractionOffsetOccupancyConcretizerINS_8FractionImLm1ELm1EEELln1EEEEELb1EEENS_9Iterators16numeric_iteratorIllPlEEZN8rajaperf9algorithm10REDUCE_SUM26runHipVariantRAJANewReduceILm256ENSN_11gpu_mapping40global_loop_occupancy_grid_stride_helperEEEvNSN_9VariantIDEEUllRNS_4expt5ValOpIdNS_9operators4plusEEEE_lNSU_15ForallParamPackIJNSU_6detail7ReducerINSX_IdddEEdSY_EEEEES7_SB_TnNSt9enable_ifIXaaaasr3std10is_base_ofINS5_15StridedLoopBaseET4_EE5valuesr3std10is_base_ofINS5_15UnsizedLoopBaseES19_EE5valuegtsrT5_10block_sizeLi0EEmE4typeELm256EEEvT1_T0_T2_T3_, .Lfunc_end16-_ZN4RAJA6policy3hip4impl18forallp_hip_kernelINS1_8hip_execINS_17iteration_mapping11StridedLoopILm0EEENS_3hip11IndexGlobalILNS_9named_dimE0ELi256ELi0EEENS8_40AvoidDeviceMaxThreadOccupancyConcretizerINS8_34FractionOffsetOccupancyConcretizerINS_8FractionImLm1ELm1EEELln1EEEEELb1EEENS_9Iterators16numeric_iteratorIllPlEEZN8rajaperf9algorithm10REDUCE_SUM26runHipVariantRAJANewReduceILm256ENSN_11gpu_mapping40global_loop_occupancy_grid_stride_helperEEEvNSN_9VariantIDEEUllRNS_4expt5ValOpIdNS_9operators4plusEEEE_lNSU_15ForallParamPackIJNSU_6detail7ReducerINSX_IdddEEdSY_EEEEES7_SB_TnNSt9enable_ifIXaaaasr3std10is_base_ofINS5_15StridedLoopBaseET4_EE5valuesr3std10is_base_ofINS5_15UnsizedLoopBaseES19_EE5valuegtsrT5_10block_sizeLi0EEmE4typeELm256EEEvT1_T0_T2_T3_
                                        ; -- End function
	.section	.AMDGPU.csdata,"",@progbits
; Kernel info:
; codeLenInByte = 2756
; NumSgprs: 30
; NumVgprs: 18
; NumAgprs: 0
; TotalNumVgprs: 18
; ScratchSize: 0
; MemoryBound: 0
; FloatMode: 240
; IeeeMode: 1
; LDSByteSize: 384 bytes/workgroup (compile time only)
; SGPRBlocks: 3
; VGPRBlocks: 2
; NumSGPRsForWavesPerEU: 30
; NumVGPRsForWavesPerEU: 18
; AccumOffset: 20
; Occupancy: 8
; WaveLimiterHint : 0
; COMPUTE_PGM_RSRC2:SCRATCH_EN: 0
; COMPUTE_PGM_RSRC2:USER_SGPR: 6
; COMPUTE_PGM_RSRC2:TRAP_HANDLER: 0
; COMPUTE_PGM_RSRC2:TGID_X_EN: 1
; COMPUTE_PGM_RSRC2:TGID_Y_EN: 0
; COMPUTE_PGM_RSRC2:TGID_Z_EN: 0
; COMPUTE_PGM_RSRC2:TIDIG_COMP_CNT: 2
; COMPUTE_PGM_RSRC3_GFX90A:ACCUM_OFFSET: 4
; COMPUTE_PGM_RSRC3_GFX90A:TG_SPLIT: 0
	.text
	.p2alignl 6, 3212836864
	.fill 256, 4, 3212836864
	.type	__hip_cuid_461dbf8dfd2459f2,@object ; @__hip_cuid_461dbf8dfd2459f2
	.section	.bss,"aw",@nobits
	.globl	__hip_cuid_461dbf8dfd2459f2
__hip_cuid_461dbf8dfd2459f2:
	.byte	0                               ; 0x0
	.size	__hip_cuid_461dbf8dfd2459f2, 1

	.ident	"AMD clang version 19.0.0git (https://github.com/RadeonOpenCompute/llvm-project roc-6.4.0 25133 c7fe45cf4b819c5991fe208aaa96edf142730f1d)"
	.section	".note.GNU-stack","",@progbits
	.addrsig
	.addrsig_sym __hip_cuid_461dbf8dfd2459f2
	.amdgpu_metadata
---
amdhsa.kernels:
  - .agpr_count:     0
    .args:
      - .address_space:  global
        .offset:         0
        .size:           8
        .value_kind:     global_buffer
      - .offset:         8
        .size:           8
        .value_kind:     by_value
      - .address_space:  global
        .offset:         16
        .size:           8
        .value_kind:     global_buffer
      - .offset:         24
        .size:           8
        .value_kind:     by_value
      - .offset:         32
        .size:           1
        .value_kind:     by_value
    .group_segment_fixed_size: 64
    .kernarg_segment_align: 8
    .kernarg_segment_size: 36
    .language:       OpenCL C
    .language_version:
      - 2
      - 0
    .max_flat_workgroup_size: 256
    .name:           _ZN7rocprim6detail19block_reduce_kernelILb0ELb1ELj1ENS0_21wrapped_reduce_configINS_14default_configEdEEdPdS5_dNS_4plusIdEEEEvT4_mT5_T6_T7_
    .private_segment_fixed_size: 0
    .sgpr_count:     48
    .sgpr_spill_count: 0
    .symbol:         _ZN7rocprim6detail19block_reduce_kernelILb0ELb1ELj1ENS0_21wrapped_reduce_configINS_14default_configEdEEdPdS5_dNS_4plusIdEEEEvT4_mT5_T6_T7_.kd
    .uniform_work_group_size: 1
    .uses_dynamic_stack: false
    .vgpr_count:     40
    .vgpr_spill_count: 0
    .wavefront_size: 64
  - .agpr_count:     0
    .args:
      - .address_space:  global
        .offset:         0
        .size:           8
        .value_kind:     global_buffer
      - .offset:         8
        .size:           8
        .value_kind:     by_value
      - .address_space:  global
        .offset:         16
        .size:           8
        .value_kind:     global_buffer
      - .offset:         24
        .size:           8
        .value_kind:     by_value
      - .offset:         32
        .size:           1
        .value_kind:     by_value
    .group_segment_fixed_size: 64
    .kernarg_segment_align: 8
    .kernarg_segment_size: 36
    .language:       OpenCL C
    .language_version:
      - 2
      - 0
    .max_flat_workgroup_size: 256
    .name:           _ZN7rocprim6detail19block_reduce_kernelILb1ELb1ELj2ENS0_21wrapped_reduce_configINS_14default_configEdEEdPdS5_dNS_4plusIdEEEEvT4_mT5_T6_T7_
    .private_segment_fixed_size: 0
    .sgpr_count:     78
    .sgpr_spill_count: 0
    .symbol:         _ZN7rocprim6detail19block_reduce_kernelILb1ELb1ELj2ENS0_21wrapped_reduce_configINS_14default_configEdEEdPdS5_dNS_4plusIdEEEEvT4_mT5_T6_T7_.kd
    .uniform_work_group_size: 1
    .uses_dynamic_stack: false
    .vgpr_count:     72
    .vgpr_spill_count: 0
    .wavefront_size: 64
  - .agpr_count:     0
    .args:
      - .address_space:  global
        .offset:         0
        .size:           8
        .value_kind:     global_buffer
      - .offset:         8
        .size:           8
        .value_kind:     by_value
      - .address_space:  global
        .offset:         16
        .size:           8
        .value_kind:     global_buffer
      - .offset:         24
        .size:           8
        .value_kind:     by_value
      - .offset:         32
        .size:           1
        .value_kind:     by_value
    .group_segment_fixed_size: 64
    .kernarg_segment_align: 8
    .kernarg_segment_size: 36
    .language:       OpenCL C
    .language_version:
      - 2
      - 0
    .max_flat_workgroup_size: 256
    .name:           _ZN7rocprim6detail19block_reduce_kernelILb1ELb1ELj4ENS0_21wrapped_reduce_configINS_14default_configEdEEdPdS5_dNS_4plusIdEEEEvT4_mT5_T6_T7_
    .private_segment_fixed_size: 0
    .sgpr_count:     100
    .sgpr_spill_count: 44
    .symbol:         _ZN7rocprim6detail19block_reduce_kernelILb1ELb1ELj4ENS0_21wrapped_reduce_configINS_14default_configEdEEdPdS5_dNS_4plusIdEEEEvT4_mT5_T6_T7_.kd
    .uniform_work_group_size: 1
    .uses_dynamic_stack: false
    .vgpr_count:     133
    .vgpr_spill_count: 0
    .wavefront_size: 64
  - .agpr_count:     10
    .args:
      - .address_space:  global
        .offset:         0
        .size:           8
        .value_kind:     global_buffer
      - .offset:         8
        .size:           8
        .value_kind:     by_value
      - .address_space:  global
        .offset:         16
        .size:           8
        .value_kind:     global_buffer
      - .offset:         24
        .size:           8
        .value_kind:     by_value
      - .offset:         32
        .size:           1
        .value_kind:     by_value
    .group_segment_fixed_size: 64
    .kernarg_segment_align: 8
    .kernarg_segment_size: 36
    .language:       OpenCL C
    .language_version:
      - 2
      - 0
    .max_flat_workgroup_size: 256
    .name:           _ZN7rocprim6detail19block_reduce_kernelILb1ELb1ELj8ENS0_21wrapped_reduce_configINS_14default_configEdEEdPdS5_dNS_4plusIdEEEEvT4_mT5_T6_T7_
    .private_segment_fixed_size: 0
    .sgpr_count:     100
    .sgpr_spill_count: 172
    .symbol:         _ZN7rocprim6detail19block_reduce_kernelILb1ELb1ELj8ENS0_21wrapped_reduce_configINS_14default_configEdEEdPdS5_dNS_4plusIdEEEEvT4_mT5_T6_T7_.kd
    .uniform_work_group_size: 1
    .uses_dynamic_stack: false
    .vgpr_count:     266
    .vgpr_spill_count: 0
    .wavefront_size: 64
  - .agpr_count:     256
    .args:
      - .address_space:  global
        .offset:         0
        .size:           8
        .value_kind:     global_buffer
      - .offset:         8
        .size:           8
        .value_kind:     by_value
      - .address_space:  global
        .offset:         16
        .size:           8
        .value_kind:     global_buffer
      - .offset:         24
        .size:           8
        .value_kind:     by_value
      - .offset:         32
        .size:           1
        .value_kind:     by_value
    .group_segment_fixed_size: 64
    .kernarg_segment_align: 8
    .kernarg_segment_size: 36
    .language:       OpenCL C
    .language_version:
      - 2
      - 0
    .max_flat_workgroup_size: 256
    .name:           _ZN7rocprim6detail19block_reduce_kernelILb1ELb1ELj16ENS0_21wrapped_reduce_configINS_14default_configEdEEdPdS5_dNS_4plusIdEEEEvT4_mT5_T6_T7_
    .private_segment_fixed_size: 52
    .sgpr_count:     104
    .sgpr_spill_count: 428
    .symbol:         _ZN7rocprim6detail19block_reduce_kernelILb1ELb1ELj16ENS0_21wrapped_reduce_configINS_14default_configEdEEdPdS5_dNS_4plusIdEEEEvT4_mT5_T6_T7_.kd
    .uniform_work_group_size: 1
    .uses_dynamic_stack: false
    .vgpr_count:     512
    .vgpr_spill_count: 12
    .wavefront_size: 64
  - .agpr_count:     0
    .args:
      - .address_space:  global
        .offset:         0
        .size:           8
        .value_kind:     global_buffer
      - .offset:         8
        .size:           8
        .value_kind:     by_value
      - .address_space:  global
        .offset:         16
        .size:           8
        .value_kind:     global_buffer
      - .offset:         24
        .size:           8
        .value_kind:     by_value
      - .offset:         32
        .size:           1
        .value_kind:     by_value
    .group_segment_fixed_size: 64
    .kernarg_segment_align: 8
    .kernarg_segment_size: 36
    .language:       OpenCL C
    .language_version:
      - 2
      - 0
    .max_flat_workgroup_size: 256
    .name:           _ZN7rocprim6detail19block_reduce_kernelILb1ELb0ELj16ENS0_21wrapped_reduce_configINS_14default_configEdEEdPdS5_dNS_4plusIdEEEEvT4_mT5_T6_T7_
    .private_segment_fixed_size: 0
    .sgpr_count:     20
    .sgpr_spill_count: 0
    .symbol:         _ZN7rocprim6detail19block_reduce_kernelILb1ELb0ELj16ENS0_21wrapped_reduce_configINS_14default_configEdEEdPdS5_dNS_4plusIdEEEEvT4_mT5_T6_T7_.kd
    .uniform_work_group_size: 1
    .uses_dynamic_stack: false
    .vgpr_count:     10
    .vgpr_spill_count: 0
    .wavefront_size: 64
  - .agpr_count:     0
    .args:
      - .address_space:  global
        .offset:         0
        .size:           8
        .value_kind:     global_buffer
      - .offset:         8
        .size:           8
        .value_kind:     by_value
      - .address_space:  global
        .offset:         16
        .size:           8
        .value_kind:     global_buffer
      - .offset:         24
        .size:           8
        .value_kind:     by_value
      - .offset:         32
        .size:           1
        .value_kind:     by_value
    .group_segment_fixed_size: 64
    .kernarg_segment_align: 8
    .kernarg_segment_size: 36
    .language:       OpenCL C
    .language_version:
      - 2
      - 0
    .max_flat_workgroup_size: 256
    .name:           _ZN7rocprim6detail19block_reduce_kernelILb1ELb0ELj8ENS0_21wrapped_reduce_configINS_14default_configEdEEdPdS5_dNS_4plusIdEEEEvT4_mT5_T6_T7_
    .private_segment_fixed_size: 0
    .sgpr_count:     20
    .sgpr_spill_count: 0
    .symbol:         _ZN7rocprim6detail19block_reduce_kernelILb1ELb0ELj8ENS0_21wrapped_reduce_configINS_14default_configEdEEdPdS5_dNS_4plusIdEEEEvT4_mT5_T6_T7_.kd
    .uniform_work_group_size: 1
    .uses_dynamic_stack: false
    .vgpr_count:     10
    .vgpr_spill_count: 0
    .wavefront_size: 64
  - .agpr_count:     0
    .args:
      - .address_space:  global
        .offset:         0
        .size:           8
        .value_kind:     global_buffer
      - .offset:         8
        .size:           8
        .value_kind:     by_value
      - .address_space:  global
        .offset:         16
        .size:           8
        .value_kind:     global_buffer
      - .offset:         24
        .size:           8
        .value_kind:     by_value
      - .offset:         32
        .size:           1
        .value_kind:     by_value
    .group_segment_fixed_size: 64
    .kernarg_segment_align: 8
    .kernarg_segment_size: 36
    .language:       OpenCL C
    .language_version:
      - 2
      - 0
    .max_flat_workgroup_size: 256
    .name:           _ZN7rocprim6detail19block_reduce_kernelILb1ELb0ELj4ENS0_21wrapped_reduce_configINS_14default_configEdEEdPdS5_dNS_4plusIdEEEEvT4_mT5_T6_T7_
    .private_segment_fixed_size: 0
    .sgpr_count:     21
    .sgpr_spill_count: 0
    .symbol:         _ZN7rocprim6detail19block_reduce_kernelILb1ELb0ELj4ENS0_21wrapped_reduce_configINS_14default_configEdEEdPdS5_dNS_4plusIdEEEEvT4_mT5_T6_T7_.kd
    .uniform_work_group_size: 1
    .uses_dynamic_stack: false
    .vgpr_count:     16
    .vgpr_spill_count: 0
    .wavefront_size: 64
  - .agpr_count:     0
    .args:
      - .address_space:  global
        .offset:         0
        .size:           8
        .value_kind:     global_buffer
      - .offset:         8
        .size:           8
        .value_kind:     by_value
      - .address_space:  global
        .offset:         16
        .size:           8
        .value_kind:     global_buffer
      - .offset:         24
        .size:           8
        .value_kind:     by_value
      - .offset:         32
        .size:           1
        .value_kind:     by_value
    .group_segment_fixed_size: 64
    .kernarg_segment_align: 8
    .kernarg_segment_size: 36
    .language:       OpenCL C
    .language_version:
      - 2
      - 0
    .max_flat_workgroup_size: 256
    .name:           _ZN7rocprim6detail19block_reduce_kernelILb1ELb0ELj2ENS0_21wrapped_reduce_configINS_14default_configEdEEdPdS5_dNS_4plusIdEEEEvT4_mT5_T6_T7_
    .private_segment_fixed_size: 0
    .sgpr_count:     29
    .sgpr_spill_count: 0
    .symbol:         _ZN7rocprim6detail19block_reduce_kernelILb1ELb0ELj2ENS0_21wrapped_reduce_configINS_14default_configEdEEdPdS5_dNS_4plusIdEEEEvT4_mT5_T6_T7_.kd
    .uniform_work_group_size: 1
    .uses_dynamic_stack: false
    .vgpr_count:     24
    .vgpr_spill_count: 0
    .wavefront_size: 64
  - .agpr_count:     0
    .args:
      - .address_space:  global
        .offset:         0
        .size:           8
        .value_kind:     global_buffer
      - .offset:         8
        .size:           8
        .value_kind:     by_value
      - .address_space:  global
        .offset:         16
        .size:           8
        .value_kind:     global_buffer
      - .offset:         24
        .size:           8
        .value_kind:     by_value
      - .offset:         32
        .size:           1
        .value_kind:     by_value
    .group_segment_fixed_size: 64
    .kernarg_segment_align: 8
    .kernarg_segment_size: 36
    .language:       OpenCL C
    .language_version:
      - 2
      - 0
    .max_flat_workgroup_size: 256
    .name:           _ZN7rocprim6detail19block_reduce_kernelILb1ELb0ELj1ENS0_21wrapped_reduce_configINS_14default_configEdEEdPdS5_dNS_4plusIdEEEEvT4_mT5_T6_T7_
    .private_segment_fixed_size: 0
    .sgpr_count:     48
    .sgpr_spill_count: 0
    .symbol:         _ZN7rocprim6detail19block_reduce_kernelILb1ELb0ELj1ENS0_21wrapped_reduce_configINS_14default_configEdEEdPdS5_dNS_4plusIdEEEEvT4_mT5_T6_T7_.kd
    .uniform_work_group_size: 1
    .uses_dynamic_stack: false
    .vgpr_count:     40
    .vgpr_spill_count: 0
    .wavefront_size: 64
  - .agpr_count:     0
    .args:
      - .address_space:  global
        .offset:         0
        .size:           8
        .value_kind:     global_buffer
      - .address_space:  global
        .offset:         8
        .size:           8
        .value_kind:     global_buffer
      - .offset:         16
        .size:           8
        .value_kind:     by_value
      - .offset:         24
        .size:           8
        .value_kind:     by_value
      - .offset:         32
        .size:           4
        .value_kind:     hidden_block_count_x
      - .offset:         36
        .size:           4
        .value_kind:     hidden_block_count_y
      - .offset:         40
        .size:           4
        .value_kind:     hidden_block_count_z
      - .offset:         44
        .size:           2
        .value_kind:     hidden_group_size_x
      - .offset:         46
        .size:           2
        .value_kind:     hidden_group_size_y
      - .offset:         48
        .size:           2
        .value_kind:     hidden_group_size_z
      - .offset:         50
        .size:           2
        .value_kind:     hidden_remainder_x
      - .offset:         52
        .size:           2
        .value_kind:     hidden_remainder_y
      - .offset:         54
        .size:           2
        .value_kind:     hidden_remainder_z
      - .offset:         72
        .size:           8
        .value_kind:     hidden_global_offset_x
      - .offset:         80
        .size:           8
        .value_kind:     hidden_global_offset_y
      - .offset:         88
        .size:           8
        .value_kind:     hidden_global_offset_z
      - .offset:         96
        .size:           2
        .value_kind:     hidden_grid_dims
      - .offset:         152
        .size:           4
        .value_kind:     hidden_dynamic_lds_size
    .group_segment_fixed_size: 0
    .kernarg_segment_align: 8
    .kernarg_segment_size: 288
    .language:       OpenCL C
    .language_version:
      - 2
      - 0
    .max_flat_workgroup_size: 256
    .name:           _ZN8rajaperf9algorithm10reduce_sumILm256EEEvPdS2_dl
    .private_segment_fixed_size: 0
    .sgpr_count:     20
    .sgpr_spill_count: 0
    .symbol:         _ZN8rajaperf9algorithm10reduce_sumILm256EEEvPdS2_dl.kd
    .uniform_work_group_size: 1
    .uses_dynamic_stack: false
    .vgpr_count:     12
    .vgpr_spill_count: 0
    .wavefront_size: 64
  - .agpr_count:     0
    .args:
      - .offset:         0
        .size:           48
        .value_kind:     by_value
      - .offset:         48
        .size:           8
        .value_kind:     by_value
      - .offset:         56
        .size:           8
        .value_kind:     by_value
      - .offset:         64
        .size:           1
        .value_kind:     by_value
      - .offset:         72
        .size:           4
        .value_kind:     hidden_block_count_x
      - .offset:         76
        .size:           4
        .value_kind:     hidden_block_count_y
      - .offset:         80
        .size:           4
        .value_kind:     hidden_block_count_z
      - .offset:         84
        .size:           2
        .value_kind:     hidden_group_size_x
      - .offset:         86
        .size:           2
        .value_kind:     hidden_group_size_y
      - .offset:         88
        .size:           2
        .value_kind:     hidden_group_size_z
      - .offset:         90
        .size:           2
        .value_kind:     hidden_remainder_x
      - .offset:         92
        .size:           2
        .value_kind:     hidden_remainder_y
      - .offset:         94
        .size:           2
        .value_kind:     hidden_remainder_z
      - .offset:         112
        .size:           8
        .value_kind:     hidden_global_offset_x
      - .offset:         120
        .size:           8
        .value_kind:     hidden_global_offset_y
      - .offset:         128
        .size:           8
        .value_kind:     hidden_global_offset_z
      - .offset:         136
        .size:           2
        .value_kind:     hidden_grid_dims
    .group_segment_fixed_size: 128
    .kernarg_segment_align: 8
    .kernarg_segment_size: 328
    .language:       OpenCL C
    .language_version:
      - 2
      - 0
    .max_flat_workgroup_size: 256
    .name:           _ZN4RAJA6policy3hip4impl18forallp_hip_kernelINS1_8hip_execINS_17iteration_mapping6DirectENS_3hip11IndexGlobalILNS_9named_dimE0ELi256ELi0EEENS7_40AvoidDeviceMaxThreadOccupancyConcretizerINS7_34FractionOffsetOccupancyConcretizerINS_8FractionImLm1ELm1EEELln1EEEEELb1EEENS_9Iterators16numeric_iteratorIllPlEEZN8rajaperf9algorithm10REDUCE_SUM17runHipVariantRAJAILm256ENSM_13gpu_algorithm19block_atomic_helperENSM_11gpu_mapping20global_direct_helperEEEvNSM_9VariantIDEEUllE_lNS_4expt15ForallParamPackIJEEES6_SA_TnNSt9enable_ifIXaasr3std10is_base_ofINS5_10DirectBaseET4_EE5valuegtsrT5_10block_sizeLi0EEmE4typeELm256EEEvT1_T0_T2_T3_
    .private_segment_fixed_size: 0
    .sgpr_count:     24
    .sgpr_spill_count: 0
    .symbol:         _ZN4RAJA6policy3hip4impl18forallp_hip_kernelINS1_8hip_execINS_17iteration_mapping6DirectENS_3hip11IndexGlobalILNS_9named_dimE0ELi256ELi0EEENS7_40AvoidDeviceMaxThreadOccupancyConcretizerINS7_34FractionOffsetOccupancyConcretizerINS_8FractionImLm1ELm1EEELln1EEEEELb1EEENS_9Iterators16numeric_iteratorIllPlEEZN8rajaperf9algorithm10REDUCE_SUM17runHipVariantRAJAILm256ENSM_13gpu_algorithm19block_atomic_helperENSM_11gpu_mapping20global_direct_helperEEEvNSM_9VariantIDEEUllE_lNS_4expt15ForallParamPackIJEEES6_SA_TnNSt9enable_ifIXaasr3std10is_base_ofINS5_10DirectBaseET4_EE5valuegtsrT5_10block_sizeLi0EEmE4typeELm256EEEvT1_T0_T2_T3_.kd
    .uniform_work_group_size: 1
    .uses_dynamic_stack: false
    .vgpr_count:     15
    .vgpr_spill_count: 0
    .wavefront_size: 64
  - .agpr_count:     0
    .args:
      - .offset:         0
        .size:           64
        .value_kind:     by_value
      - .offset:         64
        .size:           8
        .value_kind:     by_value
      - .offset:         72
        .size:           8
        .value_kind:     by_value
      - .offset:         80
        .size:           1
        .value_kind:     by_value
      - .offset:         88
        .size:           4
        .value_kind:     hidden_block_count_x
      - .offset:         92
        .size:           4
        .value_kind:     hidden_block_count_y
      - .offset:         96
        .size:           4
        .value_kind:     hidden_block_count_z
      - .offset:         100
        .size:           2
        .value_kind:     hidden_group_size_x
      - .offset:         102
        .size:           2
        .value_kind:     hidden_group_size_y
      - .offset:         104
        .size:           2
        .value_kind:     hidden_group_size_z
      - .offset:         106
        .size:           2
        .value_kind:     hidden_remainder_x
      - .offset:         108
        .size:           2
        .value_kind:     hidden_remainder_y
      - .offset:         110
        .size:           2
        .value_kind:     hidden_remainder_z
      - .offset:         128
        .size:           8
        .value_kind:     hidden_global_offset_x
      - .offset:         136
        .size:           8
        .value_kind:     hidden_global_offset_y
      - .offset:         144
        .size:           8
        .value_kind:     hidden_global_offset_z
      - .offset:         152
        .size:           2
        .value_kind:     hidden_grid_dims
    .group_segment_fixed_size: 129
    .kernarg_segment_align: 8
    .kernarg_segment_size: 344
    .language:       OpenCL C
    .language_version:
      - 2
      - 0
    .max_flat_workgroup_size: 256
    .name:           _ZN4RAJA6policy3hip4impl18forallp_hip_kernelINS1_8hip_execINS_17iteration_mapping6DirectENS_3hip11IndexGlobalILNS_9named_dimE0ELi256ELi0EEENS7_40AvoidDeviceMaxThreadOccupancyConcretizerINS7_34FractionOffsetOccupancyConcretizerINS_8FractionImLm1ELm1EEELln1EEEEELb1EEENS_9Iterators16numeric_iteratorIllPlEEZN8rajaperf9algorithm10REDUCE_SUM17runHipVariantRAJAILm256ENSM_13gpu_algorithm19block_device_helperENSM_11gpu_mapping20global_direct_helperEEEvNSM_9VariantIDEEUllE_lNS_4expt15ForallParamPackIJEEES6_SA_TnNSt9enable_ifIXaasr3std10is_base_ofINS5_10DirectBaseET4_EE5valuegtsrT5_10block_sizeLi0EEmE4typeELm256EEEvT1_T0_T2_T3_
    .private_segment_fixed_size: 0
    .sgpr_count:     30
    .sgpr_spill_count: 0
    .symbol:         _ZN4RAJA6policy3hip4impl18forallp_hip_kernelINS1_8hip_execINS_17iteration_mapping6DirectENS_3hip11IndexGlobalILNS_9named_dimE0ELi256ELi0EEENS7_40AvoidDeviceMaxThreadOccupancyConcretizerINS7_34FractionOffsetOccupancyConcretizerINS_8FractionImLm1ELm1EEELln1EEEEELb1EEENS_9Iterators16numeric_iteratorIllPlEEZN8rajaperf9algorithm10REDUCE_SUM17runHipVariantRAJAILm256ENSM_13gpu_algorithm19block_device_helperENSM_11gpu_mapping20global_direct_helperEEEvNSM_9VariantIDEEUllE_lNS_4expt15ForallParamPackIJEEES6_SA_TnNSt9enable_ifIXaasr3std10is_base_ofINS5_10DirectBaseET4_EE5valuegtsrT5_10block_sizeLi0EEmE4typeELm256EEEvT1_T0_T2_T3_.kd
    .uniform_work_group_size: 1
    .uses_dynamic_stack: false
    .vgpr_count:     20
    .vgpr_spill_count: 0
    .wavefront_size: 64
  - .agpr_count:     0
    .args:
      - .address_space:  global
        .offset:         0
        .size:           8
        .value_kind:     global_buffer
      - .offset:         8
        .size:           8
        .value_kind:     by_value
      - .offset:         16
        .size:           8
        .value_kind:     by_value
      - .offset:         24
        .size:           40
        .value_kind:     by_value
      - .offset:         64
        .size:           4
        .value_kind:     hidden_block_count_x
      - .offset:         68
        .size:           4
        .value_kind:     hidden_block_count_y
      - .offset:         72
        .size:           4
        .value_kind:     hidden_block_count_z
      - .offset:         76
        .size:           2
        .value_kind:     hidden_group_size_x
      - .offset:         78
        .size:           2
        .value_kind:     hidden_group_size_y
      - .offset:         80
        .size:           2
        .value_kind:     hidden_group_size_z
      - .offset:         82
        .size:           2
        .value_kind:     hidden_remainder_x
      - .offset:         84
        .size:           2
        .value_kind:     hidden_remainder_y
      - .offset:         86
        .size:           2
        .value_kind:     hidden_remainder_z
      - .offset:         104
        .size:           8
        .value_kind:     hidden_global_offset_x
      - .offset:         112
        .size:           8
        .value_kind:     hidden_global_offset_y
      - .offset:         120
        .size:           8
        .value_kind:     hidden_global_offset_z
      - .offset:         128
        .size:           2
        .value_kind:     hidden_grid_dims
    .group_segment_fixed_size: 384
    .kernarg_segment_align: 8
    .kernarg_segment_size: 320
    .language:       OpenCL C
    .language_version:
      - 2
      - 0
    .max_flat_workgroup_size: 256
    .name:           _ZN4RAJA6policy3hip4impl18forallp_hip_kernelINS1_8hip_execINS_17iteration_mapping6DirectENS_3hip11IndexGlobalILNS_9named_dimE0ELi256ELi0EEENS7_40AvoidDeviceMaxThreadOccupancyConcretizerINS7_34FractionOffsetOccupancyConcretizerINS_8FractionImLm1ELm1EEELln1EEEEELb1EEENS_9Iterators16numeric_iteratorIllPlEEZN8rajaperf9algorithm10REDUCE_SUM26runHipVariantRAJANewReduceILm256ENSM_11gpu_mapping20global_direct_helperEEEvNSM_9VariantIDEEUllRNS_4expt5ValOpIdNS_9operators4plusEEEE_lNST_15ForallParamPackIJNST_6detail7ReducerINSW_IdddEEdSX_EEEEES6_SA_TnNSt9enable_ifIXaasr3std10is_base_ofINS5_10DirectBaseET4_EE5valuegtsrT5_10block_sizeLi0EEmE4typeELm256EEEvT1_T0_T2_T3_
    .private_segment_fixed_size: 0
    .sgpr_count:     26
    .sgpr_spill_count: 0
    .symbol:         _ZN4RAJA6policy3hip4impl18forallp_hip_kernelINS1_8hip_execINS_17iteration_mapping6DirectENS_3hip11IndexGlobalILNS_9named_dimE0ELi256ELi0EEENS7_40AvoidDeviceMaxThreadOccupancyConcretizerINS7_34FractionOffsetOccupancyConcretizerINS_8FractionImLm1ELm1EEELln1EEEEELb1EEENS_9Iterators16numeric_iteratorIllPlEEZN8rajaperf9algorithm10REDUCE_SUM26runHipVariantRAJANewReduceILm256ENSM_11gpu_mapping20global_direct_helperEEEvNSM_9VariantIDEEUllRNS_4expt5ValOpIdNS_9operators4plusEEEE_lNST_15ForallParamPackIJNST_6detail7ReducerINSW_IdddEEdSX_EEEEES6_SA_TnNSt9enable_ifIXaasr3std10is_base_ofINS5_10DirectBaseET4_EE5valuegtsrT5_10block_sizeLi0EEmE4typeELm256EEEvT1_T0_T2_T3_.kd
    .uniform_work_group_size: 1
    .uses_dynamic_stack: false
    .vgpr_count:     18
    .vgpr_spill_count: 0
    .wavefront_size: 64
  - .agpr_count:     0
    .args:
      - .offset:         0
        .size:           48
        .value_kind:     by_value
      - .offset:         48
        .size:           8
        .value_kind:     by_value
      - .offset:         56
        .size:           8
        .value_kind:     by_value
      - .offset:         64
        .size:           1
        .value_kind:     by_value
      - .offset:         72
        .size:           4
        .value_kind:     hidden_block_count_x
      - .offset:         76
        .size:           4
        .value_kind:     hidden_block_count_y
      - .offset:         80
        .size:           4
        .value_kind:     hidden_block_count_z
      - .offset:         84
        .size:           2
        .value_kind:     hidden_group_size_x
      - .offset:         86
        .size:           2
        .value_kind:     hidden_group_size_y
      - .offset:         88
        .size:           2
        .value_kind:     hidden_group_size_z
      - .offset:         90
        .size:           2
        .value_kind:     hidden_remainder_x
      - .offset:         92
        .size:           2
        .value_kind:     hidden_remainder_y
      - .offset:         94
        .size:           2
        .value_kind:     hidden_remainder_z
      - .offset:         112
        .size:           8
        .value_kind:     hidden_global_offset_x
      - .offset:         120
        .size:           8
        .value_kind:     hidden_global_offset_y
      - .offset:         128
        .size:           8
        .value_kind:     hidden_global_offset_z
      - .offset:         136
        .size:           2
        .value_kind:     hidden_grid_dims
    .group_segment_fixed_size: 128
    .kernarg_segment_align: 8
    .kernarg_segment_size: 328
    .language:       OpenCL C
    .language_version:
      - 2
      - 0
    .max_flat_workgroup_size: 256
    .name:           _ZN4RAJA6policy3hip4impl18forallp_hip_kernelINS1_8hip_execINS_17iteration_mapping11StridedLoopILm0EEENS_3hip11IndexGlobalILNS_9named_dimE0ELi256ELi0EEENS8_40AvoidDeviceMaxThreadOccupancyConcretizerINS8_34FractionOffsetOccupancyConcretizerINS_8FractionImLm1ELm1EEELln1EEEEELb1EEENS_9Iterators16numeric_iteratorIllPlEEZN8rajaperf9algorithm10REDUCE_SUM17runHipVariantRAJAILm256ENSN_13gpu_algorithm19block_atomic_helperENSN_11gpu_mapping40global_loop_occupancy_grid_stride_helperEEEvNSN_9VariantIDEEUllE_lNS_4expt15ForallParamPackIJEEES7_SB_TnNSt9enable_ifIXaaaasr3std10is_base_ofINS5_15StridedLoopBaseET4_EE5valuesr3std10is_base_ofINS5_15UnsizedLoopBaseES12_EE5valuegtsrT5_10block_sizeLi0EEmE4typeELm256EEEvT1_T0_T2_T3_
    .private_segment_fixed_size: 0
    .sgpr_count:     28
    .sgpr_spill_count: 0
    .symbol:         _ZN4RAJA6policy3hip4impl18forallp_hip_kernelINS1_8hip_execINS_17iteration_mapping11StridedLoopILm0EEENS_3hip11IndexGlobalILNS_9named_dimE0ELi256ELi0EEENS8_40AvoidDeviceMaxThreadOccupancyConcretizerINS8_34FractionOffsetOccupancyConcretizerINS_8FractionImLm1ELm1EEELln1EEEEELb1EEENS_9Iterators16numeric_iteratorIllPlEEZN8rajaperf9algorithm10REDUCE_SUM17runHipVariantRAJAILm256ENSN_13gpu_algorithm19block_atomic_helperENSN_11gpu_mapping40global_loop_occupancy_grid_stride_helperEEEvNSN_9VariantIDEEUllE_lNS_4expt15ForallParamPackIJEEES7_SB_TnNSt9enable_ifIXaaaasr3std10is_base_ofINS5_15StridedLoopBaseET4_EE5valuesr3std10is_base_ofINS5_15UnsizedLoopBaseES12_EE5valuegtsrT5_10block_sizeLi0EEmE4typeELm256EEEvT1_T0_T2_T3_.kd
    .uniform_work_group_size: 1
    .uses_dynamic_stack: false
    .vgpr_count:     15
    .vgpr_spill_count: 0
    .wavefront_size: 64
  - .agpr_count:     0
    .args:
      - .offset:         0
        .size:           64
        .value_kind:     by_value
      - .offset:         64
        .size:           8
        .value_kind:     by_value
      - .offset:         72
        .size:           8
        .value_kind:     by_value
      - .offset:         80
        .size:           1
        .value_kind:     by_value
      - .offset:         88
        .size:           4
        .value_kind:     hidden_block_count_x
      - .offset:         92
        .size:           4
        .value_kind:     hidden_block_count_y
      - .offset:         96
        .size:           4
        .value_kind:     hidden_block_count_z
      - .offset:         100
        .size:           2
        .value_kind:     hidden_group_size_x
      - .offset:         102
        .size:           2
        .value_kind:     hidden_group_size_y
      - .offset:         104
        .size:           2
        .value_kind:     hidden_group_size_z
      - .offset:         106
        .size:           2
        .value_kind:     hidden_remainder_x
      - .offset:         108
        .size:           2
        .value_kind:     hidden_remainder_y
      - .offset:         110
        .size:           2
        .value_kind:     hidden_remainder_z
      - .offset:         128
        .size:           8
        .value_kind:     hidden_global_offset_x
      - .offset:         136
        .size:           8
        .value_kind:     hidden_global_offset_y
      - .offset:         144
        .size:           8
        .value_kind:     hidden_global_offset_z
      - .offset:         152
        .size:           2
        .value_kind:     hidden_grid_dims
    .group_segment_fixed_size: 129
    .kernarg_segment_align: 8
    .kernarg_segment_size: 344
    .language:       OpenCL C
    .language_version:
      - 2
      - 0
    .max_flat_workgroup_size: 256
    .name:           _ZN4RAJA6policy3hip4impl18forallp_hip_kernelINS1_8hip_execINS_17iteration_mapping11StridedLoopILm0EEENS_3hip11IndexGlobalILNS_9named_dimE0ELi256ELi0EEENS8_40AvoidDeviceMaxThreadOccupancyConcretizerINS8_34FractionOffsetOccupancyConcretizerINS_8FractionImLm1ELm1EEELln1EEEEELb1EEENS_9Iterators16numeric_iteratorIllPlEEZN8rajaperf9algorithm10REDUCE_SUM17runHipVariantRAJAILm256ENSN_13gpu_algorithm19block_device_helperENSN_11gpu_mapping40global_loop_occupancy_grid_stride_helperEEEvNSN_9VariantIDEEUllE_lNS_4expt15ForallParamPackIJEEES7_SB_TnNSt9enable_ifIXaaaasr3std10is_base_ofINS5_15StridedLoopBaseET4_EE5valuesr3std10is_base_ofINS5_15UnsizedLoopBaseES12_EE5valuegtsrT5_10block_sizeLi0EEmE4typeELm256EEEvT1_T0_T2_T3_
    .private_segment_fixed_size: 0
    .sgpr_count:     32
    .sgpr_spill_count: 0
    .symbol:         _ZN4RAJA6policy3hip4impl18forallp_hip_kernelINS1_8hip_execINS_17iteration_mapping11StridedLoopILm0EEENS_3hip11IndexGlobalILNS_9named_dimE0ELi256ELi0EEENS8_40AvoidDeviceMaxThreadOccupancyConcretizerINS8_34FractionOffsetOccupancyConcretizerINS_8FractionImLm1ELm1EEELln1EEEEELb1EEENS_9Iterators16numeric_iteratorIllPlEEZN8rajaperf9algorithm10REDUCE_SUM17runHipVariantRAJAILm256ENSN_13gpu_algorithm19block_device_helperENSN_11gpu_mapping40global_loop_occupancy_grid_stride_helperEEEvNSN_9VariantIDEEUllE_lNS_4expt15ForallParamPackIJEEES7_SB_TnNSt9enable_ifIXaaaasr3std10is_base_ofINS5_15StridedLoopBaseET4_EE5valuesr3std10is_base_ofINS5_15UnsizedLoopBaseES12_EE5valuegtsrT5_10block_sizeLi0EEmE4typeELm256EEEvT1_T0_T2_T3_.kd
    .uniform_work_group_size: 1
    .uses_dynamic_stack: false
    .vgpr_count:     20
    .vgpr_spill_count: 0
    .wavefront_size: 64
  - .agpr_count:     0
    .args:
      - .address_space:  global
        .offset:         0
        .size:           8
        .value_kind:     global_buffer
      - .offset:         8
        .size:           8
        .value_kind:     by_value
      - .offset:         16
        .size:           8
        .value_kind:     by_value
      - .offset:         24
        .size:           40
        .value_kind:     by_value
      - .offset:         64
        .size:           4
        .value_kind:     hidden_block_count_x
      - .offset:         68
        .size:           4
        .value_kind:     hidden_block_count_y
      - .offset:         72
        .size:           4
        .value_kind:     hidden_block_count_z
      - .offset:         76
        .size:           2
        .value_kind:     hidden_group_size_x
      - .offset:         78
        .size:           2
        .value_kind:     hidden_group_size_y
      - .offset:         80
        .size:           2
        .value_kind:     hidden_group_size_z
      - .offset:         82
        .size:           2
        .value_kind:     hidden_remainder_x
      - .offset:         84
        .size:           2
        .value_kind:     hidden_remainder_y
      - .offset:         86
        .size:           2
        .value_kind:     hidden_remainder_z
      - .offset:         104
        .size:           8
        .value_kind:     hidden_global_offset_x
      - .offset:         112
        .size:           8
        .value_kind:     hidden_global_offset_y
      - .offset:         120
        .size:           8
        .value_kind:     hidden_global_offset_z
      - .offset:         128
        .size:           2
        .value_kind:     hidden_grid_dims
    .group_segment_fixed_size: 384
    .kernarg_segment_align: 8
    .kernarg_segment_size: 320
    .language:       OpenCL C
    .language_version:
      - 2
      - 0
    .max_flat_workgroup_size: 256
    .name:           _ZN4RAJA6policy3hip4impl18forallp_hip_kernelINS1_8hip_execINS_17iteration_mapping11StridedLoopILm0EEENS_3hip11IndexGlobalILNS_9named_dimE0ELi256ELi0EEENS8_40AvoidDeviceMaxThreadOccupancyConcretizerINS8_34FractionOffsetOccupancyConcretizerINS_8FractionImLm1ELm1EEELln1EEEEELb1EEENS_9Iterators16numeric_iteratorIllPlEEZN8rajaperf9algorithm10REDUCE_SUM26runHipVariantRAJANewReduceILm256ENSN_11gpu_mapping40global_loop_occupancy_grid_stride_helperEEEvNSN_9VariantIDEEUllRNS_4expt5ValOpIdNS_9operators4plusEEEE_lNSU_15ForallParamPackIJNSU_6detail7ReducerINSX_IdddEEdSY_EEEEES7_SB_TnNSt9enable_ifIXaaaasr3std10is_base_ofINS5_15StridedLoopBaseET4_EE5valuesr3std10is_base_ofINS5_15UnsizedLoopBaseES19_EE5valuegtsrT5_10block_sizeLi0EEmE4typeELm256EEEvT1_T0_T2_T3_
    .private_segment_fixed_size: 0
    .sgpr_count:     30
    .sgpr_spill_count: 0
    .symbol:         _ZN4RAJA6policy3hip4impl18forallp_hip_kernelINS1_8hip_execINS_17iteration_mapping11StridedLoopILm0EEENS_3hip11IndexGlobalILNS_9named_dimE0ELi256ELi0EEENS8_40AvoidDeviceMaxThreadOccupancyConcretizerINS8_34FractionOffsetOccupancyConcretizerINS_8FractionImLm1ELm1EEELln1EEEEELb1EEENS_9Iterators16numeric_iteratorIllPlEEZN8rajaperf9algorithm10REDUCE_SUM26runHipVariantRAJANewReduceILm256ENSN_11gpu_mapping40global_loop_occupancy_grid_stride_helperEEEvNSN_9VariantIDEEUllRNS_4expt5ValOpIdNS_9operators4plusEEEE_lNSU_15ForallParamPackIJNSU_6detail7ReducerINSX_IdddEEdSY_EEEEES7_SB_TnNSt9enable_ifIXaaaasr3std10is_base_ofINS5_15StridedLoopBaseET4_EE5valuesr3std10is_base_ofINS5_15UnsizedLoopBaseES19_EE5valuegtsrT5_10block_sizeLi0EEmE4typeELm256EEEvT1_T0_T2_T3_.kd
    .uniform_work_group_size: 1
    .uses_dynamic_stack: false
    .vgpr_count:     18
    .vgpr_spill_count: 0
    .wavefront_size: 64
amdhsa.target:   amdgcn-amd-amdhsa--gfx90a
amdhsa.version:
  - 1
  - 2
...

	.end_amdgpu_metadata
